;; amdgpu-corpus repo=ROCm/rocFFT kind=compiled arch=gfx1201 opt=O3
	.text
	.amdgcn_target "amdgcn-amd-amdhsa--gfx1201"
	.amdhsa_code_object_version 6
	.protected	bluestein_single_back_len1989_dim1_sp_op_CI_CI ; -- Begin function bluestein_single_back_len1989_dim1_sp_op_CI_CI
	.globl	bluestein_single_back_len1989_dim1_sp_op_CI_CI
	.p2align	8
	.type	bluestein_single_back_len1989_dim1_sp_op_CI_CI,@function
bluestein_single_back_len1989_dim1_sp_op_CI_CI: ; @bluestein_single_back_len1989_dim1_sp_op_CI_CI
; %bb.0:
	s_load_b128 s[8:11], s[0:1], 0x28
	v_mul_u32_u24_e32 v1, 0x1ad, v0
	s_mov_b32 s2, exec_lo
	v_mov_b32_e32 v93, 0
	s_delay_alu instid0(VALU_DEP_2) | instskip(NEXT) | instid1(VALU_DEP_1)
	v_lshrrev_b32_e32 v1, 16, v1
	v_add_nc_u32_e32 v92, ttmp9, v1
	s_wait_kmcnt 0x0
	s_delay_alu instid0(VALU_DEP_1)
	v_cmpx_gt_u64_e64 s[8:9], v[92:93]
	s_cbranch_execz .LBB0_23
; %bb.1:
	s_clause 0x1
	s_load_b64 s[8:9], s[0:1], 0x0
	s_load_b64 s[12:13], s[0:1], 0x38
	v_mul_lo_u16 v1, 0x99, v1
	s_delay_alu instid0(VALU_DEP_1) | instskip(NEXT) | instid1(VALU_DEP_1)
	v_sub_nc_u16 v0, v0, v1
	v_and_b32_e32 v102, 0xffff, v0
	v_cmp_gt_u16_e32 vcc_lo, 0x75, v0
	s_delay_alu instid0(VALU_DEP_2)
	v_lshlrev_b32_e32 v101, 3, v102
	s_and_saveexec_b32 s3, vcc_lo
	s_cbranch_execz .LBB0_3
; %bb.2:
	s_load_b64 s[4:5], s[0:1], 0x18
	s_delay_alu instid0(VALU_DEP_1)
	v_add_nc_u32_e32 v70, 0x400, v101
	v_add_nc_u32_e32 v72, 0x1400, v101
	s_wait_kmcnt 0x0
	s_load_b128 s[4:7], s[4:5], 0x0
	s_wait_kmcnt 0x0
	v_mad_co_u64_u32 v[0:1], null, s6, v92, 0
	v_mad_co_u64_u32 v[2:3], null, s4, v102, 0
	s_delay_alu instid0(VALU_DEP_1) | instskip(NEXT) | instid1(VALU_DEP_1)
	v_mad_co_u64_u32 v[4:5], null, s7, v92, v[1:2]
	v_mad_co_u64_u32 v[5:6], null, s5, v102, v[3:4]
	v_mov_b32_e32 v1, v4
	s_mul_u64 s[4:5], s[4:5], 0x3a8
	s_delay_alu instid0(VALU_DEP_1) | instskip(NEXT) | instid1(VALU_DEP_3)
	v_lshlrev_b64_e32 v[0:1], 3, v[0:1]
	v_mov_b32_e32 v3, v5
	s_delay_alu instid0(VALU_DEP_2) | instskip(NEXT) | instid1(VALU_DEP_2)
	v_add_co_u32 v10, s2, s10, v0
	v_lshlrev_b64_e32 v[2:3], 3, v[2:3]
	s_delay_alu instid0(VALU_DEP_4)
	v_add_co_ci_u32_e64 v11, s2, s11, v1, s2
	s_clause 0xb
	global_load_b64 v[0:1], v101, s[8:9]
	global_load_b64 v[4:5], v101, s[8:9] offset:936
	global_load_b64 v[6:7], v101, s[8:9] offset:1872
	;; [unrolled: 1-line block ×11, first 2 shown]
	v_add_co_u32 v2, s2, v10, v2
	s_wait_alu 0xf1ff
	v_add_co_ci_u32_e64 v3, s2, v11, v3, s2
	s_clause 0x2
	global_load_b64 v[32:33], v101, s[8:9] offset:11232
	global_load_b64 v[34:35], v101, s[8:9] offset:12168
	;; [unrolled: 1-line block ×3, first 2 shown]
	s_wait_alu 0xfffe
	v_add_co_u32 v10, s2, v2, s4
	s_wait_alu 0xf1ff
	v_add_co_ci_u32_e64 v11, s2, s5, v3, s2
	s_delay_alu instid0(VALU_DEP_2) | instskip(SKIP_1) | instid1(VALU_DEP_2)
	v_add_co_u32 v20, s2, v10, s4
	s_wait_alu 0xf1ff
	v_add_co_ci_u32_e64 v21, s2, s5, v11, s2
	s_delay_alu instid0(VALU_DEP_2) | instskip(SKIP_1) | instid1(VALU_DEP_2)
	;; [unrolled: 4-line block ×3, first 2 shown]
	v_add_co_u32 v38, s2, v30, s4
	s_wait_alu 0xf1ff
	v_add_co_ci_u32_e64 v39, s2, s5, v31, s2
	s_clause 0x3
	global_load_b64 v[2:3], v[2:3], off
	global_load_b64 v[10:11], v[10:11], off
	;; [unrolled: 1-line block ×4, first 2 shown]
	v_add_co_u32 v40, s2, v38, s4
	s_wait_alu 0xf1ff
	v_add_co_ci_u32_e64 v41, s2, s5, v39, s2
	global_load_b64 v[38:39], v[38:39], off
	v_add_co_u32 v42, s2, v40, s4
	s_wait_alu 0xf1ff
	v_add_co_ci_u32_e64 v43, s2, s5, v41, s2
	global_load_b64 v[40:41], v[40:41], off
	;; [unrolled: 4-line block ×11, first 2 shown]
	v_add_co_u32 v62, s2, v60, s4
	s_wait_alu 0xf1ff
	v_add_co_ci_u32_e64 v63, s2, s5, v61, s2
	global_load_b64 v[64:65], v101, s[8:9] offset:14040
	global_load_b64 v[60:61], v[60:61], off
	global_load_b64 v[66:67], v101, s[8:9] offset:14976
	global_load_b64 v[62:63], v[62:63], off
	v_add_nc_u32_e32 v76, 0x3000, v101
	v_add_nc_u32_e32 v73, 0x1c00, v101
	s_wait_loadcnt 0x12
	v_mul_f32_e32 v68, v3, v1
	v_mul_f32_e32 v69, v2, v1
	s_wait_loadcnt 0x11
	v_mul_f32_e32 v1, v11, v5
	v_add_nc_u32_e32 v74, 0x2400, v101
	s_delay_alu instid0(VALU_DEP_3) | instskip(NEXT) | instid1(VALU_DEP_3)
	v_fma_f32 v69, v3, v0, -v69
	v_fmac_f32_e32 v1, v10, v4
	s_wait_loadcnt 0x10
	v_mul_f32_e32 v3, v21, v7
	v_dual_fmac_f32 v68, v2, v0 :: v_dual_add_nc_u32 v71, 0xc00, v101
	v_dual_mul_f32 v0, v10, v5 :: v_dual_mul_f32 v7, v20, v7
	s_delay_alu instid0(VALU_DEP_3)
	v_fmac_f32_e32 v3, v20, v6
	s_wait_loadcnt 0xf
	v_mul_f32_e32 v5, v31, v9
	v_mul_f32_e32 v9, v30, v9
	v_fma_f32 v2, v11, v4, -v0
	v_fma_f32 v4, v21, v6, -v7
	s_wait_loadcnt 0xe
	v_dual_mul_f32 v0, v39, v13 :: v_dual_fmac_f32 v5, v30, v8
	v_fma_f32 v6, v31, v8, -v9
	v_mul_f32_e32 v7, v38, v13
	ds_store_2addr_b64 v101, v[68:69], v[1:2] offset1:117
	s_wait_loadcnt 0xd
	v_dual_mul_f32 v2, v41, v15 :: v_dual_add_nc_u32 v75, 0x2800, v101
	v_fmac_f32_e32 v0, v38, v12
	ds_store_2addr_b64 v70, v[3:4], v[5:6] offset0:106 offset1:223
	s_wait_loadcnt 0xc
	v_dual_mul_f32 v3, v40, v15 :: v_dual_mul_f32 v4, v43, v17
	v_fmac_f32_e32 v2, v40, v14
	s_wait_loadcnt 0xa
	v_mul_f32_e32 v8, v47, v23
	v_fma_f32 v1, v39, v12, -v7
	v_fma_f32 v3, v41, v14, -v3
	v_mul_f32_e32 v6, v45, v19
	v_dual_mul_f32 v7, v44, v19 :: v_dual_fmac_f32 v4, v42, v16
	v_mul_f32_e32 v9, v46, v23
	ds_store_2addr_b64 v71, v[0:1], v[2:3] offset0:84 offset1:201
	s_wait_loadcnt 0x9
	v_mul_f32_e32 v0, v49, v25
	v_dual_mul_f32 v5, v42, v17 :: v_dual_fmac_f32 v6, v44, v18
	v_fma_f32 v7, v45, v18, -v7
	s_wait_loadcnt 0x8
	v_mul_f32_e32 v2, v51, v27
	v_fmac_f32_e32 v0, v48, v24
	v_fma_f32 v5, v43, v16, -v5
	v_dual_fmac_f32 v8, v46, v22 :: v_dual_mul_f32 v1, v48, v25
	ds_store_2addr_b64 v72, v[4:5], v[6:7] offset0:62 offset1:179
	s_wait_loadcnt 0x6
	v_mul_f32_e32 v6, v55, v33
	v_mul_f32_e32 v7, v54, v33
	;; [unrolled: 1-line block ×3, first 2 shown]
	s_wait_loadcnt 0x5
	v_mul_f32_e32 v10, v57, v35
	v_mul_f32_e32 v3, v50, v27
	v_dual_mul_f32 v5, v52, v29 :: v_dual_fmac_f32 v2, v50, v26
	s_wait_loadcnt 0x4
	v_dual_mul_f32 v11, v56, v35 :: v_dual_mul_f32 v12, v59, v37
	v_dual_fmac_f32 v10, v56, v34 :: v_dual_mul_f32 v13, v58, v37
	s_wait_loadcnt 0x2
	v_mul_f32_e32 v14, v61, v65
	v_mul_f32_e32 v15, v60, v65
	s_wait_loadcnt 0x0
	v_mul_f32_e32 v17, v62, v67
	v_fmac_f32_e32 v6, v54, v32
	v_mul_f32_e32 v16, v63, v67
	v_fma_f32 v9, v47, v22, -v9
	v_fma_f32 v1, v49, v24, -v1
	v_fmac_f32_e32 v4, v52, v28
	v_fma_f32 v3, v51, v26, -v3
	v_fma_f32 v5, v53, v28, -v5
	;; [unrolled: 1-line block ×4, first 2 shown]
	v_fmac_f32_e32 v12, v58, v36
	v_fma_f32 v13, v59, v36, -v13
	v_fmac_f32_e32 v14, v60, v64
	v_fma_f32 v15, v61, v64, -v15
	;; [unrolled: 2-line block ×3, first 2 shown]
	ds_store_2addr_b64 v73, v[8:9], v[0:1] offset0:40 offset1:157
	ds_store_2addr_b64 v74, v[2:3], v[4:5] offset0:18 offset1:135
	;; [unrolled: 1-line block ×4, first 2 shown]
	ds_store_b64 v101, v[16:17] offset:14976
.LBB0_3:
	s_or_b32 exec_lo, exec_lo, s3
	s_clause 0x1
	s_load_b64 s[4:5], s[0:1], 0x20
	s_load_b64 s[2:3], s[0:1], 0x8
	v_mov_b32_e32 v0, 0
	v_mov_b32_e32 v1, 0
	global_wb scope:SCOPE_SE
	s_wait_dscnt 0x0
	s_wait_kmcnt 0x0
	s_barrier_signal -1
	s_barrier_wait -1
	global_inv scope:SCOPE_SE
                                        ; implicit-def: $vgpr4
                                        ; implicit-def: $vgpr32
                                        ; implicit-def: $vgpr10
                                        ; implicit-def: $vgpr14
                                        ; implicit-def: $vgpr22
                                        ; implicit-def: $vgpr30
                                        ; implicit-def: $vgpr18
                                        ; implicit-def: $vgpr26
	s_and_saveexec_b32 s0, vcc_lo
	s_cbranch_execz .LBB0_5
; %bb.4:
	v_add_nc_u32_e32 v4, 0x400, v101
	v_add_nc_u32_e32 v5, 0xc00, v101
	;; [unrolled: 1-line block ×3, first 2 shown]
	ds_load_2addr_b64 v[0:3], v101 offset1:117
	v_add_nc_u32_e32 v7, 0x2800, v101
	ds_load_2addr_b64 v[24:27], v4 offset0:106 offset1:223
	ds_load_2addr_b64 v[16:19], v5 offset0:84 offset1:201
	v_add_nc_u32_e32 v4, 0x1c00, v101
	v_add_nc_u32_e32 v5, 0x2400, v101
	;; [unrolled: 1-line block ×3, first 2 shown]
	ds_load_2addr_b64 v[28:31], v6 offset0:62 offset1:179
	ds_load_2addr_b64 v[20:23], v4 offset0:40 offset1:157
	;; [unrolled: 1-line block ×5, first 2 shown]
	ds_load_b64 v[32:33], v101 offset:14976
.LBB0_5:
	s_wait_alu 0xfffe
	s_or_b32 exec_lo, exec_lo, s0
	s_wait_dscnt 0x0
	v_dual_sub_f32 v38, v3, v33 :: v_dual_sub_f32 v107, v2, v32
	v_dual_add_f32 v62, v32, v2 :: v_dual_add_f32 v63, v33, v3
	v_dual_sub_f32 v40, v25, v7 :: v_dual_add_f32 v69, v6, v24
	s_delay_alu instid0(VALU_DEP_3) | instskip(SKIP_1) | instid1(VALU_DEP_3)
	v_dual_mul_f32 v42, 0xbeb8f4ab, v38 :: v_dual_mul_f32 v43, 0xbeb8f4ab, v107
	v_dual_mul_f32 v48, 0xbf2c7751, v38 :: v_dual_mul_f32 v51, 0xbf2c7751, v107
	v_dual_mul_f32 v44, 0xbf2c7751, v40 :: v_dual_add_f32 v73, v7, v25
	s_delay_alu instid0(VALU_DEP_3) | instskip(NEXT) | instid1(VALU_DEP_4)
	v_fma_f32 v35, 0x3f6eb680, v63, -v43
	v_fmamk_f32 v34, v62, 0x3f6eb680, v42
	s_delay_alu instid0(VALU_DEP_4) | instskip(SKIP_4) | instid1(VALU_DEP_4)
	v_fma_f32 v37, 0x3f3d2fb0, v63, -v51
	v_fmamk_f32 v36, v62, 0x3f3d2fb0, v48
	v_dual_mul_f32 v98, 0xbe3c28d5, v40 :: v_dual_add_f32 v77, v4, v26
	v_add_f32_e32 v35, v35, v1
	v_dual_mul_f32 v55, 0xbf65296c, v38 :: v_dual_add_f32 v34, v34, v0
	v_dual_add_f32 v37, v37, v1 :: v_dual_add_f32 v36, v36, v0
	global_wb scope:SCOPE_SE
	v_fmamk_f32 v39, v62, 0x3ee437d1, v55
	v_mul_f32_e32 v70, 0xbf65296c, v107
	s_barrier_signal -1
	s_barrier_wait -1
	global_inv scope:SCOPE_SE
	v_add_f32_e32 v39, v39, v0
	v_fma_f32 v41, 0x3ee437d1, v63, -v70
	v_mul_f32_e32 v90, 0xbf7ee86f, v38
	v_dual_sub_f32 v116, v24, v6 :: v_dual_add_f32 v79, v5, v27
	v_sub_f32_e32 v125, v26, v4
	s_delay_alu instid0(VALU_DEP_4) | instskip(NEXT) | instid1(VALU_DEP_4)
	v_add_f32_e32 v47, v41, v1
	v_fmamk_f32 v45, v62, 0x3dbcf732, v90
	v_mul_f32_e32 v104, 0xbf7ee86f, v107
	v_mul_f32_e32 v112, 0xbe3c28d5, v116
	v_dual_mul_f32 v95, 0x3e3c28d5, v125 :: v_dual_sub_f32 v130, v16, v10
	s_delay_alu instid0(VALU_DEP_4) | instskip(NEXT) | instid1(VALU_DEP_4)
	v_add_f32_e32 v49, v45, v0
	v_fma_f32 v46, 0x3dbcf732, v63, -v104
	v_fmamk_f32 v41, v69, 0x3f3d2fb0, v44
	v_dual_mul_f32 v65, 0xbf4c4adb, v125 :: v_dual_sub_f32 v142, v17, v11
	v_add_f32_e32 v91, v10, v16
	s_delay_alu instid0(VALU_DEP_4) | instskip(NEXT) | instid1(VALU_DEP_4)
	v_dual_add_f32 v50, v46, v1 :: v_dual_mul_f32 v45, 0xbf2c7751, v116
	v_dual_add_f32 v34, v41, v34 :: v_dual_mul_f32 v67, 0xbf4c4adb, v40
	s_delay_alu instid0(VALU_DEP_4) | instskip(SKIP_1) | instid1(VALU_DEP_4)
	v_mul_f32_e32 v93, 0x3f763a35, v142
	v_dual_mul_f32 v105, 0x3f763a35, v130 :: v_dual_sub_f32 v134, v18, v8
	v_fma_f32 v41, 0x3f3d2fb0, v73, -v45
	v_mul_f32_e32 v52, 0xbf7ee86f, v40
	v_fmamk_f32 v54, v69, 0xbf1a4643, v67
	v_dual_mul_f32 v126, 0x3eb8f4ab, v130 :: v_dual_sub_f32 v145, v19, v9
	s_delay_alu instid0(VALU_DEP_4) | instskip(NEXT) | instid1(VALU_DEP_4)
	v_add_f32_e32 v35, v41, v35
	v_dual_sub_f32 v41, v27, v5 :: v_dual_fmamk_f32 v46, v69, 0x3dbcf732, v52
	s_delay_alu instid0(VALU_DEP_4) | instskip(SKIP_1) | instid1(VALU_DEP_3)
	v_dual_add_f32 v39, v54, v39 :: v_dual_fmamk_f32 v54, v69, 0xbf7ba420, v98
	v_mul_f32_e32 v59, 0xbf7ee86f, v116
	v_mul_f32_e32 v58, 0xbf4c4adb, v41
	;; [unrolled: 1-line block ×4, first 2 shown]
	v_add_f32_e32 v54, v54, v49
	v_fma_f32 v53, 0x3dbcf732, v73, -v59
	v_mul_f32_e32 v80, 0xbf4c4adb, v116
	v_dual_mul_f32 v64, 0x3f06c442, v145 :: v_dual_mul_f32 v81, 0x3f06c442, v134
	v_dual_mul_f32 v114, 0x3f2c7751, v134 :: v_dual_add_f32 v111, v15, v29
	s_delay_alu instid0(VALU_DEP_4) | instskip(NEXT) | instid1(VALU_DEP_4)
	v_add_f32_e32 v37, v53, v37
	v_fma_f32 v56, 0xbf1a4643, v73, -v80
	v_add_f32_e32 v36, v46, v36
	v_mul_f32_e32 v46, 0xbf65296c, v41
	v_dual_add_f32 v94, v11, v17 :: v_dual_add_f32 v99, v8, v18
	s_delay_alu instid0(VALU_DEP_4) | instskip(SKIP_3) | instid1(VALU_DEP_3)
	v_add_f32_e32 v53, v56, v47
	v_fma_f32 v56, 0xbf7ba420, v73, -v112
	v_dual_mul_f32 v131, 0xbf65296c, v134 :: v_dual_sub_f32 v146, v31, v13
	v_dual_sub_f32 v137, v30, v12 :: v_dual_add_f32 v118, v13, v31
	v_add_f32_e32 v56, v56, v50
	v_fmamk_f32 v50, v77, 0xbf1a4643, v58
	v_fmamk_f32 v57, v77, 0x3ee437d1, v46
	v_mul_f32_e32 v119, 0x3f763a35, v125
	v_mul_f32_e32 v129, 0xbf7ee86f, v137
	s_delay_alu instid0(VALU_DEP_4) | instskip(NEXT) | instid1(VALU_DEP_4)
	v_dual_sub_f32 v147, v21, v23 :: v_dual_add_f32 v36, v50, v36
	v_dual_mul_f32 v47, 0xbf65296c, v125 :: v_dual_add_f32 v34, v57, v34
	v_fma_f32 v50, 0xbf7ba420, v79, -v95
	v_mul_f32_e32 v71, 0xbe3c28d5, v130
	v_fma_f32 v83, 0x3dbcf732, v118, -v129
	s_delay_alu instid0(VALU_DEP_4) | instskip(SKIP_2) | instid1(VALU_DEP_3)
	v_fma_f32 v49, 0x3ee437d1, v79, -v47
	v_dual_sub_f32 v140, v20, v22 :: v_dual_mul_f32 v123, 0xbf06c442, v147
	v_dual_add_f32 v53, v50, v53 :: v_dual_fmamk_f32 v50, v77, 0xbe8c1d8e, v108
	v_add_f32_e32 v35, v49, v35
	v_fma_f32 v49, 0xbf1a4643, v79, -v65
	v_fmamk_f32 v57, v77, 0xbf7ba420, v76
	v_fma_f32 v61, 0xbf7ba420, v94, -v71
	v_add_f32_e32 v54, v50, v54
	s_delay_alu instid0(VALU_DEP_4) | instskip(NEXT) | instid1(VALU_DEP_4)
	v_dual_mul_f32 v50, 0xbf7ee86f, v130 :: v_dual_add_f32 v37, v49, v37
	v_add_f32_e32 v39, v57, v39
	v_mul_f32_e32 v49, 0xbf7ee86f, v142
	v_fma_f32 v57, 0xbe8c1d8e, v79, -v119
	v_dual_add_f32 v122, v23, v21 :: v_dual_mul_f32 v127, 0xbf06c442, v140
	v_dual_mul_f32 v132, 0x3f2c7751, v147 :: v_dual_mul_f32 v139, 0x3f2c7751, v140
	s_delay_alu instid0(VALU_DEP_4)
	v_fmamk_f32 v60, v91, 0x3dbcf732, v49
	v_dual_mul_f32 v66, 0xbe3c28d5, v142 :: v_dual_add_f32 v37, v61, v37
	v_add_f32_e32 v56, v57, v56
	v_fma_f32 v57, 0x3dbcf732, v94, -v50
	v_fma_f32 v61, 0x3f6eb680, v94, -v126
	v_dual_mul_f32 v115, 0x3eb8f4ab, v142 :: v_dual_mul_f32 v100, 0x3eb8f4ab, v140
	v_add_f32_e32 v117, v12, v30
	s_delay_alu instid0(VALU_DEP_4) | instskip(NEXT) | instid1(VALU_DEP_4)
	v_add_f32_e32 v35, v57, v35
	v_dual_add_f32 v56, v61, v56 :: v_dual_fmamk_f32 v57, v91, 0xbe8c1d8e, v93
	v_add_f32_e32 v34, v60, v34
	v_fmamk_f32 v60, v91, 0xbf7ba420, v66
	v_fmamk_f32 v61, v99, 0xbf59a7d5, v64
	v_fma_f32 v143, 0x3f3d2fb0, v122, -v139
	v_dual_add_f32 v39, v57, v39 :: v_dual_mul_f32 v96, 0x3f2c7751, v145
	s_delay_alu instid0(VALU_DEP_4) | instskip(SKIP_3) | instid1(VALU_DEP_4)
	v_add_f32_e32 v36, v60, v36
	v_fma_f32 v60, 0xbe8c1d8e, v94, -v105
	v_fma_f32 v89, 0xbf59a7d5, v122, -v127
	v_mul_f32_e32 v109, 0x3f65296c, v137
	v_dual_mul_f32 v113, 0xbf7ee86f, v146 :: v_dual_add_f32 v36, v61, v36
	s_delay_alu instid0(VALU_DEP_4)
	v_dual_add_f32 v57, v60, v53 :: v_dual_fmamk_f32 v60, v91, 0x3f6eb680, v115
	v_mul_f32_e32 v53, 0xbf763a35, v145
	v_add_f32_e32 v103, v9, v19
	v_add_f32_e32 v121, v22, v20
	v_mul_f32_e32 v133, 0x3f4c4adb, v146
	v_add_f32_e32 v68, v60, v54
	v_fmamk_f32 v60, v99, 0xbe8c1d8e, v53
	v_fma_f32 v72, 0xbf59a7d5, v103, -v81
	v_fmamk_f32 v74, v99, 0x3f3d2fb0, v96
	v_fma_f32 v75, 0x3ee437d1, v103, -v131
	v_mul_f32_e32 v54, 0xbf763a35, v134
	v_add_f32_e32 v34, v60, v34
	v_add_f32_e32 v37, v72, v37
	v_sub_f32_e32 v136, v28, v14
	v_add_f32_e32 v56, v75, v56
	v_fma_f32 v60, 0xbe8c1d8e, v103, -v54
	v_fma_f32 v72, 0x3f3d2fb0, v103, -v114
	v_add_f32_e32 v39, v74, v39
	v_mul_f32_e32 v97, 0x3f763a35, v136
	s_delay_alu instid0(VALU_DEP_4) | instskip(NEXT) | instid1(VALU_DEP_4)
	v_dual_add_f32 v110, v14, v28 :: v_dual_add_f32 v35, v60, v35
	v_dual_add_f32 v57, v72, v57 :: v_dual_fmamk_f32 v86, v117, 0xbf1a4643, v133
	s_delay_alu instid0(VALU_DEP_3) | instskip(SKIP_1) | instid1(VALU_DEP_2)
	v_fma_f32 v75, 0xbe8c1d8e, v111, -v97
	v_fmamk_f32 v141, v121, 0x3f3d2fb0, v132
	v_dual_add_f32 v37, v75, v37 :: v_dual_sub_f32 v144, v29, v15
	v_mul_f32_e32 v61, 0xbf4c4adb, v136
	v_mul_f32_e32 v120, 0xbeb8f4ab, v136
	;; [unrolled: 1-line block ×3, first 2 shown]
	s_delay_alu instid0(VALU_DEP_4) | instskip(NEXT) | instid1(VALU_DEP_4)
	v_mul_f32_e32 v60, 0xbf4c4adb, v144
	v_fma_f32 v72, 0xbf1a4643, v111, -v61
	v_mul_f32_e32 v124, 0xbf65296c, v145
	v_mul_f32_e32 v106, 0xbeb8f4ab, v144
	v_fma_f32 v82, 0x3f6eb680, v111, -v120
	s_delay_alu instid0(VALU_DEP_4) | instskip(NEXT) | instid1(VALU_DEP_4)
	v_dual_fmamk_f32 v78, v110, 0xbf1a4643, v60 :: v_dual_add_f32 v35, v72, v35
	v_fmamk_f32 v74, v99, 0x3ee437d1, v124
	v_fma_f32 v75, 0xbf59a7d5, v111, -v135
	s_delay_alu instid0(VALU_DEP_4) | instskip(NEXT) | instid1(VALU_DEP_4)
	v_add_f32_e32 v57, v82, v57
	v_add_f32_e32 v34, v78, v34
	v_fmamk_f32 v78, v110, 0x3f6eb680, v106
	v_add_f32_e32 v68, v74, v68
	s_delay_alu instid0(VALU_DEP_4) | instskip(SKIP_1) | instid1(VALU_DEP_4)
	v_dual_mul_f32 v74, 0x3f763a35, v144 :: v_dual_add_f32 v87, v83, v57
	v_add_f32_e32 v85, v75, v56
	v_dual_add_f32 v39, v78, v39 :: v_dual_mul_f32 v128, 0xbf06c442, v144
	s_delay_alu instid0(VALU_DEP_3) | instskip(NEXT) | instid1(VALU_DEP_1)
	v_dual_fmamk_f32 v72, v110, 0xbe8c1d8e, v74 :: v_dual_add_f32 v87, v89, v87
	v_dual_mul_f32 v83, 0x3eb8f4ab, v147 :: v_dual_add_f32 v36, v72, v36
	s_delay_alu instid0(VALU_DEP_3) | instskip(NEXT) | instid1(VALU_DEP_1)
	v_fmamk_f32 v72, v110, 0xbf59a7d5, v128
	v_add_f32_e32 v84, v72, v68
	v_mul_f32_e32 v68, 0xbf06c442, v146
	v_mul_f32_e32 v72, 0xbf06c442, v137
	;; [unrolled: 1-line block ×3, first 2 shown]
	s_delay_alu instid0(VALU_DEP_3) | instskip(NEXT) | instid1(VALU_DEP_3)
	v_fmamk_f32 v78, v117, 0xbf59a7d5, v68
	v_fma_f32 v56, 0xbf59a7d5, v118, -v72
	s_delay_alu instid0(VALU_DEP_2) | instskip(SKIP_1) | instid1(VALU_DEP_3)
	v_add_f32_e32 v34, v78, v34
	v_fma_f32 v78, 0x3ee437d1, v118, -v109
	v_dual_add_f32 v35, v56, v35 :: v_dual_fmamk_f32 v56, v117, 0x3dbcf732, v113
	s_delay_alu instid0(VALU_DEP_2) | instskip(NEXT) | instid1(VALU_DEP_2)
	v_dual_add_f32 v37, v78, v37 :: v_dual_mul_f32 v78, 0xbe3c28d5, v140
	v_add_f32_e32 v39, v56, v39
	s_delay_alu instid0(VALU_DEP_2) | instskip(NEXT) | instid1(VALU_DEP_1)
	v_fma_f32 v57, 0xbf7ba420, v122, -v78
	v_add_f32_e32 v57, v57, v35
	v_fma_f32 v35, 0x3f6eb680, v122, -v100
	v_mul_f32_e32 v82, 0x3f65296c, v146
	s_delay_alu instid0(VALU_DEP_1) | instskip(NEXT) | instid1(VALU_DEP_1)
	v_fmamk_f32 v75, v117, 0x3ee437d1, v82
	v_dual_add_f32 v36, v75, v36 :: v_dual_mul_f32 v75, 0xbe3c28d5, v147
	v_add_f32_e32 v88, v86, v84
	s_delay_alu instid0(VALU_DEP_2) | instskip(NEXT) | instid1(VALU_DEP_2)
	v_fmamk_f32 v56, v121, 0xbf7ba420, v75
	v_add_f32_e32 v88, v141, v88
	s_delay_alu instid0(VALU_DEP_2) | instskip(SKIP_1) | instid1(VALU_DEP_1)
	v_add_f32_e32 v56, v56, v34
	v_fmamk_f32 v34, v121, 0x3f6eb680, v83
	v_add_f32_e32 v84, v34, v36
	v_fma_f32 v34, 0xbf1a4643, v118, -v138
	v_fmamk_f32 v36, v121, 0xbf59a7d5, v123
	s_delay_alu instid0(VALU_DEP_2) | instskip(NEXT) | instid1(VALU_DEP_2)
	v_add_f32_e32 v34, v34, v85
	v_dual_add_f32 v85, v35, v37 :: v_dual_add_f32 v86, v36, v39
	s_delay_alu instid0(VALU_DEP_2)
	v_add_f32_e32 v89, v143, v34
	s_and_saveexec_b32 s0, vcc_lo
	s_cbranch_execz .LBB0_7
; %bb.6:
	v_mul_f32_e32 v152, 0xbf763a35, v38
	v_mul_f32_e32 v151, 0xbe8c1d8e, v63
	;; [unrolled: 1-line block ×5, first 2 shown]
	v_fmamk_f32 v35, v62, 0xbe8c1d8e, v152
	v_mul_f32_e32 v170, 0xbf4c4adb, v147
	v_fmamk_f32 v141, v91, 0x3ee437d1, v157
	v_fmamk_f32 v39, v125, 0xbf2c7751, v154
	v_mul_f32_e32 v159, 0xbe3c28d5, v145
	v_add_f32_e32 v35, v35, v0
	v_fmamk_f32 v34, v107, 0x3f763a35, v151
	v_fmamk_f32 v143, v121, 0xbf1a4643, v170
	v_mul_f32_e32 v165, 0xbf1a4643, v122
	v_mul_f32_e32 v158, 0xbf7ba420, v103
	s_delay_alu instid0(VALU_DEP_4)
	v_dual_mul_f32 v171, 0x3f763a35, v40 :: v_dual_add_f32 v34, v34, v1
	v_mul_f32_e32 v153, 0x3f06c442, v40
	v_mul_f32_e32 v150, 0xbf59a7d5, v73
	;; [unrolled: 1-line block ×5, first 2 shown]
	v_fmamk_f32 v37, v69, 0xbf59a7d5, v153
	v_fmamk_f32 v36, v116, 0xbf06c442, v150
	v_dual_mul_f32 v164, 0xbeb8f4ab, v146 :: v_dual_mul_f32 v173, 0xbeb8f4ab, v41
	s_delay_alu instid0(VALU_DEP_4) | instskip(NEXT) | instid1(VALU_DEP_3)
	v_fmamk_f32 v181, v116, 0xbf65296c, v179
	v_dual_add_f32 v35, v37, v35 :: v_dual_add_f32 v34, v36, v34
	v_mul_f32_e32 v155, 0x3f2c7751, v41
	v_fmamk_f32 v37, v130, 0x3f65296c, v156
	v_mul_f32_e32 v185, 0x3f65296c, v40
	s_delay_alu instid0(VALU_DEP_4)
	v_dual_mul_f32 v177, 0x3f7ee86f, v145 :: v_dual_add_f32 v34, v39, v34
	v_fmamk_f32 v39, v140, 0x3f4c4adb, v165
	v_fmamk_f32 v36, v77, 0x3f3d2fb0, v155
	v_mul_f32_e32 v172, 0x3dbcf732, v103
	v_mul_f32_e32 v183, 0xbf1a4643, v94
	v_dual_add_f32 v34, v37, v34 :: v_dual_fmamk_f32 v37, v99, 0xbf7ba420, v159
	s_delay_alu instid0(VALU_DEP_4) | instskip(SKIP_3) | instid1(VALU_DEP_4)
	v_dual_add_f32 v35, v36, v35 :: v_dual_fmamk_f32 v36, v134, 0x3e3c28d5, v158
	v_mul_f32_e32 v189, 0xbf7ba420, v111
	v_mul_f32_e32 v191, 0x3f3d2fb0, v118
	;; [unrolled: 1-line block ×3, first 2 shown]
	v_add_f32_e32 v35, v141, v35
	v_fmamk_f32 v141, v116, 0xbf763a35, v166
	v_mul_f32_e32 v161, 0x3f7ee86f, v144
	v_mul_f32_e32 v160, 0x3dbcf732, v111
	s_delay_alu instid0(VALU_DEP_4) | instskip(SKIP_1) | instid1(VALU_DEP_4)
	v_dual_add_f32 v34, v36, v34 :: v_dual_add_f32 v35, v37, v35
	v_mul_f32_e32 v162, 0x3f6eb680, v118
	v_fmamk_f32 v37, v110, 0x3dbcf732, v161
	s_delay_alu instid0(VALU_DEP_4) | instskip(SKIP_3) | instid1(VALU_DEP_4)
	v_fmamk_f32 v36, v136, 0xbf7ee86f, v160
	v_fmac_f32_e32 v160, 0x3f7ee86f, v136
	v_mul_f32_e32 v167, 0x3f6eb680, v79
	v_mul_f32_e32 v205, 0x3ee437d1, v111
	v_dual_add_f32 v35, v37, v35 :: v_dual_add_f32 v34, v36, v34
	v_fmamk_f32 v36, v137, 0x3eb8f4ab, v162
	v_fmamk_f32 v37, v107, 0x3f4c4adb, v163
	s_delay_alu instid0(VALU_DEP_4)
	v_fmamk_f32 v206, v136, 0xbf65296c, v205
	v_fmamk_f32 v187, v69, 0x3ee437d1, v185
	v_mul_f32_e32 v175, 0xbf06c442, v142
	v_add_f32_e32 v34, v36, v34
	v_fmamk_f32 v36, v117, 0x3f6eb680, v164
	v_add_f32_e32 v37, v37, v1
	v_fmac_f32_e32 v154, 0x3f2c7751, v125
	v_mul_f32_e32 v197, 0x3f6eb680, v73
	v_fmamk_f32 v194, v137, 0xbf2c7751, v191
	v_dual_add_f32 v36, v36, v35 :: v_dual_add_f32 v35, v39, v34
	v_add_f32_e32 v34, v141, v37
	v_fmamk_f32 v141, v69, 0xbe8c1d8e, v171
	v_mul_f32_e32 v168, 0xbf4c4adb, v38
	v_mul_f32_e32 v186, 0x3f6eb680, v103
	v_fmamk_f32 v37, v125, 0x3eb8f4ab, v167
	v_fmamk_f32 v199, v116, 0xbeb8f4ab, v197
	v_fmac_f32_e32 v158, 0xbe3c28d5, v134
	v_fmamk_f32 v39, v62, 0xbf1a4643, v168
	v_mul_f32_e32 v178, 0xbf59a7d5, v63
	v_add_f32_e32 v34, v37, v34
	v_mul_f32_e32 v204, 0xbf06c442, v41
	s_delay_alu instid0(VALU_DEP_4)
	v_dual_mul_f32 v200, 0xbf59a7d5, v79 :: v_dual_add_f32 v39, v39, v0
	v_mul_f32_e32 v148, 0xbf2c7751, v144
	v_mul_f32_e32 v174, 0x3f3d2fb0, v111
	;; [unrolled: 1-line block ×3, first 2 shown]
	v_fmac_f32_e32 v163, 0xbf4c4adb, v107
	v_add_f32_e32 v39, v141, v39
	v_fmamk_f32 v141, v77, 0x3f6eb680, v173
	v_mul_f32_e32 v176, 0xbf7ba420, v118
	v_mul_f32_e32 v188, 0xbf7ee86f, v41
	v_fmac_f32_e32 v166, 0x3f763a35, v116
	v_mul_f32_e32 v182, 0x3dbcf732, v79
	v_add_f32_e32 v39, v141, v39
	v_fmamk_f32 v149, v137, 0x3e3c28d5, v176
	v_mul_f32_e32 v169, 0xbf59a7d5, v94
	v_fmamk_f32 v141, v91, 0xbf59a7d5, v175
	v_mul_f32_e32 v190, 0x3f4c4adb, v142
	v_mul_f32_e32 v202, 0x3eb8f4ab, v40
	s_delay_alu instid0(VALU_DEP_4) | instskip(NEXT) | instid1(VALU_DEP_4)
	v_dual_fmac_f32 v150, 0x3f06c442, v116 :: v_dual_fmamk_f32 v37, v130, 0x3f06c442, v169
	v_add_f32_e32 v39, v141, v39
	v_fmamk_f32 v141, v99, 0x3dbcf732, v177
	v_fmac_f32_e32 v176, 0xbe3c28d5, v137
	s_delay_alu instid0(VALU_DEP_4) | instskip(SKIP_1) | instid1(VALU_DEP_2)
	v_dual_add_f32 v3, v3, v1 :: v_dual_add_f32 v34, v37, v34
	v_fmamk_f32 v37, v134, 0xbf7ee86f, v172
	v_dual_fmac_f32 v172, 0x3f7ee86f, v134 :: v_dual_add_f32 v3, v25, v3
	s_delay_alu instid0(VALU_DEP_2) | instskip(NEXT) | instid1(VALU_DEP_2)
	v_dual_add_f32 v34, v37, v34 :: v_dual_fmamk_f32 v37, v136, 0x3f2c7751, v174
	v_add_f32_e32 v3, v27, v3
	s_delay_alu instid0(VALU_DEP_2) | instskip(SKIP_2) | instid1(VALU_DEP_4)
	v_dual_add_f32 v37, v37, v34 :: v_dual_add_f32 v34, v143, v36
	v_fmamk_f32 v143, v107, 0x3f06c442, v178
	v_fmac_f32_e32 v165, 0xbf4c4adb, v140
	v_add_f32_e32 v3, v17, v3
	s_delay_alu instid0(VALU_DEP_4)
	v_add_f32_e32 v36, v149, v37
	v_add_f32_e32 v37, v141, v39
	v_fmamk_f32 v39, v110, 0x3f3d2fb0, v148
	v_mul_f32_e32 v149, 0xbe3c28d5, v146
	v_mul_f32_e32 v141, 0x3ee437d1, v122
	v_dual_add_f32 v143, v143, v1 :: v_dual_fmac_f32 v174, 0xbf2c7751, v136
	v_fmac_f32_e32 v167, 0xbeb8f4ab, v125
	v_fmac_f32_e32 v169, 0xbf06c442, v130
	s_delay_alu instid0(VALU_DEP_4) | instskip(SKIP_2) | instid1(VALU_DEP_2)
	v_dual_fmamk_f32 v180, v140, 0xbf65296c, v141 :: v_dual_add_f32 v37, v39, v37
	v_fmamk_f32 v39, v117, 0xbf7ba420, v149
	v_add_f32_e32 v3, v19, v3
	v_add_f32_e32 v39, v39, v37
	s_delay_alu instid0(VALU_DEP_4)
	v_dual_add_f32 v37, v180, v36 :: v_dual_mul_f32 v180, 0xbf06c442, v38
	v_add_f32_e32 v36, v181, v143
	v_fmamk_f32 v181, v125, 0x3f7ee86f, v182
	v_mul_f32_e32 v143, 0x3f65296c, v147
	v_fmac_f32_e32 v182, 0xbf7ee86f, v125
	v_dual_fmamk_f32 v184, v62, 0xbf59a7d5, v180 :: v_dual_add_f32 v3, v29, v3
	s_delay_alu instid0(VALU_DEP_4) | instskip(NEXT) | instid1(VALU_DEP_2)
	v_dual_add_f32 v36, v181, v36 :: v_dual_fmamk_f32 v181, v130, 0xbf4c4adb, v183
	v_dual_fmamk_f32 v193, v121, 0x3ee437d1, v143 :: v_dual_add_f32 v184, v184, v0
	s_delay_alu instid0(VALU_DEP_3) | instskip(NEXT) | instid1(VALU_DEP_3)
	v_dual_add_f32 v3, v31, v3 :: v_dual_add_f32 v2, v2, v0
	v_dual_add_f32 v36, v181, v36 :: v_dual_fmamk_f32 v181, v134, 0x3eb8f4ab, v186
	s_delay_alu instid0(VALU_DEP_3) | instskip(NEXT) | instid1(VALU_DEP_3)
	v_dual_add_f32 v184, v187, v184 :: v_dual_fmamk_f32 v187, v77, 0x3dbcf732, v188
	v_dual_fmac_f32 v186, 0xbeb8f4ab, v134 :: v_dual_add_f32 v3, v21, v3
	s_delay_alu instid0(VALU_DEP_3) | instskip(SKIP_1) | instid1(VALU_DEP_4)
	v_dual_add_f32 v36, v181, v36 :: v_dual_fmamk_f32 v181, v136, 0x3e3c28d5, v189
	v_mul_f32_e32 v192, 0xbeb8f4ab, v145
	v_add_f32_e32 v184, v187, v184
	v_dual_fmamk_f32 v187, v91, 0xbf1a4643, v190 :: v_dual_add_f32 v2, v24, v2
	s_delay_alu instid0(VALU_DEP_4) | instskip(SKIP_2) | instid1(VALU_DEP_4)
	v_add_f32_e32 v181, v181, v36
	v_add_f32_e32 v36, v193, v39
	v_add_f32_e32 v3, v23, v3
	v_add_f32_e32 v184, v187, v184
	v_fmamk_f32 v187, v99, 0x3f6eb680, v192
	v_dual_add_f32 v39, v194, v181 :: v_dual_mul_f32 v194, 0xbe8c1d8e, v122
	v_fmac_f32_e32 v151, 0xbf763a35, v107
	s_delay_alu instid0(VALU_DEP_3) | instskip(SKIP_1) | instid1(VALU_DEP_3)
	v_dual_mul_f32 v181, 0xbf7ba420, v63 :: v_dual_add_f32 v184, v187, v184
	v_dual_add_f32 v26, v26, v2 :: v_dual_add_f32 v3, v13, v3
	v_add_f32_e32 v151, v151, v1
	v_mul_f32_e32 v193, 0x3f2c7751, v146
	s_delay_alu instid0(VALU_DEP_3) | instskip(NEXT) | instid1(VALU_DEP_3)
	v_add_f32_e32 v3, v15, v3
	v_add_f32_e32 v150, v150, v151
	v_fma_f32 v151, 0x3f3d2fb0, v77, -v155
	s_delay_alu instid0(VALU_DEP_3) | instskip(NEXT) | instid1(VALU_DEP_3)
	v_dual_fmac_f32 v156, 0xbf65296c, v130 :: v_dual_add_f32 v3, v9, v3
	v_add_f32_e32 v150, v154, v150
	v_fmamk_f32 v187, v110, 0xbf7ba420, v195
	v_fmac_f32_e32 v197, 0x3eb8f4ab, v116
	s_delay_alu instid0(VALU_DEP_4) | instskip(NEXT) | instid1(VALU_DEP_4)
	v_dual_fmac_f32 v162, 0xbeb8f4ab, v137 :: v_dual_add_f32 v3, v11, v3
	v_add_f32_e32 v150, v156, v150
	s_delay_alu instid0(VALU_DEP_4) | instskip(SKIP_1) | instid1(VALU_DEP_3)
	v_dual_add_f32 v184, v187, v184 :: v_dual_fmamk_f32 v187, v117, 0x3f3d2fb0, v193
	v_fmamk_f32 v203, v69, 0x3f6eb680, v202
	v_dual_add_f32 v3, v5, v3 :: v_dual_add_f32 v150, v158, v150
	v_fmamk_f32 v198, v140, 0x3f763a35, v194
	v_fmac_f32_e32 v194, 0xbf763a35, v140
	v_mul_lo_u16 v5, v102, 17
	s_delay_alu instid0(VALU_DEP_4) | instskip(NEXT) | instid1(VALU_DEP_4)
	v_dual_add_f32 v7, v7, v3 :: v_dual_add_f32 v150, v160, v150
	v_dual_add_f32 v39, v198, v39 :: v_dual_mul_f32 v198, 0x3f3d2fb0, v94
	v_dual_add_f32 v184, v187, v184 :: v_dual_mul_f32 v187, 0xbe3c28d5, v38
	s_delay_alu instid0(VALU_DEP_3) | instskip(SKIP_2) | instid1(VALU_DEP_4)
	v_dual_add_f32 v150, v162, v150 :: v_dual_fmac_f32 v179, 0x3f65296c, v116
	v_add_f32_e32 v116, v163, v1
	v_and_b32_e32 v11, 0xffff, v5
	v_fmamk_f32 v201, v62, 0xbf7ba420, v187
	v_fmamk_f32 v196, v107, 0x3e3c28d5, v181
	s_delay_alu instid0(VALU_DEP_4) | instskip(NEXT) | instid1(VALU_DEP_2)
	v_add_f32_e32 v116, v166, v116
	v_dual_add_f32 v201, v201, v0 :: v_dual_add_f32 v196, v196, v1
	s_delay_alu instid0(VALU_DEP_2) | instskip(NEXT) | instid1(VALU_DEP_2)
	v_add_f32_e32 v116, v167, v116
	v_add_f32_e32 v41, v203, v201
	s_delay_alu instid0(VALU_DEP_3) | instskip(SKIP_4) | instid1(VALU_DEP_4)
	v_dual_add_f32 v38, v199, v196 :: v_dual_fmamk_f32 v201, v77, 0xbf59a7d5, v204
	v_fmamk_f32 v196, v125, 0x3f06c442, v200
	v_mul_f32_e32 v199, 0xbf763a35, v147
	v_fmamk_f32 v40, v130, 0xbf2c7751, v198
	v_fmac_f32_e32 v200, 0xbf06c442, v125
	v_dual_fmamk_f32 v145, v99, 0xbf1a4643, v207 :: v_dual_add_f32 v38, v196, v38
	v_mul_f32_e32 v196, 0xbf1a4643, v103
	v_mul_f32_e32 v142, 0x3f2c7751, v142
	v_fmamk_f32 v203, v121, 0xbe8c1d8e, v199
	s_delay_alu instid0(VALU_DEP_4) | instskip(SKIP_1) | instid1(VALU_DEP_4)
	v_dual_add_f32 v41, v201, v41 :: v_dual_add_f32 v38, v40, v38
	v_fmac_f32_e32 v183, 0x3f4c4adb, v130
	v_fmamk_f32 v201, v91, 0x3f3d2fb0, v142
	v_fmamk_f32 v40, v134, 0x3f4c4adb, v196
	v_fmac_f32_e32 v198, 0x3f2c7751, v130
	v_fmac_f32_e32 v196, 0xbf4c4adb, v134
	v_add_f32_e32 v116, v169, v116
	s_delay_alu instid0(VALU_DEP_4) | instskip(SKIP_3) | instid1(VALU_DEP_4)
	v_dual_add_f32 v41, v201, v41 :: v_dual_add_f32 v40, v40, v38
	v_add_f32_e32 v38, v203, v184
	v_mul_f32_e32 v184, 0x3f65296c, v144
	v_mul_f32_e32 v201, 0xbe8c1d8e, v118
	v_dual_add_f32 v41, v145, v41 :: v_dual_add_f32 v116, v172, v116
	v_mul_f32_e32 v134, 0x3dbcf732, v63
	s_delay_alu instid0(VALU_DEP_4) | instskip(SKIP_1) | instid1(VALU_DEP_4)
	v_fmamk_f32 v145, v110, 0x3ee437d1, v184
	v_fma_f32 v142, 0x3f3d2fb0, v91, -v142
	v_add_f32_e32 v116, v174, v116
	s_delay_alu instid0(VALU_DEP_3) | instskip(SKIP_3) | instid1(VALU_DEP_4)
	v_dual_add_f32 v104, v104, v134 :: v_dual_add_f32 v41, v145, v41
	v_fmac_f32_e32 v178, 0xbf06c442, v107
	v_add_f32_e32 v40, v206, v40
	v_mul_f32_e32 v134, 0xbe8c1d8e, v79
	v_add_f32_e32 v104, v104, v1
	v_add_f32_e32 v116, v176, v116
	;; [unrolled: 1-line block ×3, first 2 shown]
	v_mul_f32_e32 v178, 0xbf763a35, v146
	v_fmamk_f32 v146, v137, 0x3f763a35, v201
	s_delay_alu instid0(VALU_DEP_3) | instskip(NEXT) | instid1(VALU_DEP_2)
	v_dual_fmac_f32 v201, 0xbf763a35, v137 :: v_dual_add_f32 v144, v179, v144
	v_dual_fmamk_f32 v145, v117, 0xbe8c1d8e, v178 :: v_dual_add_f32 v40, v146, v40
	v_fma_f32 v146, 0xbf59a7d5, v62, -v180
	v_mul_f32_e32 v180, 0x3f7ee86f, v147
	v_mul_f32_e32 v179, 0x3dbcf732, v122
	s_delay_alu instid0(VALU_DEP_4)
	v_add_f32_e32 v145, v145, v41
	v_fmac_f32_e32 v189, 0xbe3c28d5, v136
	v_add_f32_e32 v41, v146, v0
	v_fma_f32 v146, 0x3ee437d1, v69, -v185
	v_dual_fmamk_f32 v147, v140, 0xbf7ee86f, v179 :: v_dual_add_f32 v144, v182, v144
	v_fma_f32 v182, 0x3dbcf732, v77, -v188
	s_delay_alu instid0(VALU_DEP_2) | instskip(SKIP_3) | instid1(VALU_DEP_4)
	v_dual_add_f32 v146, v146, v41 :: v_dual_add_f32 v41, v147, v40
	v_fmamk_f32 v40, v121, 0x3dbcf732, v180
	v_fma_f32 v147, 0xbf1a4643, v91, -v190
	v_add_f32_e32 v144, v183, v144
	v_dual_add_f32 v146, v182, v146 :: v_dual_fmac_f32 v191, 0x3f2c7751, v137
	s_delay_alu instid0(VALU_DEP_4) | instskip(SKIP_1) | instid1(VALU_DEP_3)
	v_add_f32_e32 v40, v40, v145
	v_fma_f32 v137, 0xbe8c1d8e, v117, -v178
	v_dual_add_f32 v144, v186, v144 :: v_dual_add_f32 v145, v147, v146
	v_fma_f32 v147, 0xbe8c1d8e, v62, -v152
	v_fma_f32 v146, 0x3f6eb680, v99, -v192
	;; [unrolled: 1-line block ×3, first 2 shown]
	s_delay_alu instid0(VALU_DEP_4)
	v_add_f32_e32 v144, v189, v144
	v_fmac_f32_e32 v179, 0x3f7ee86f, v140
	v_add_f32_e32 v147, v147, v0
	v_add_f32_e32 v145, v146, v145
	v_fma_f32 v146, 0xbf7ba420, v110, -v195
	v_dual_add_f32 v144, v191, v144 :: v_dual_fmac_f32 v181, 0xbe3c28d5, v107
	s_delay_alu instid0(VALU_DEP_4) | instskip(SKIP_1) | instid1(VALU_DEP_4)
	v_add_f32_e32 v147, v152, v147
	v_fma_f32 v152, 0xbe8c1d8e, v121, -v199
	v_add_f32_e32 v145, v146, v145
	v_fma_f32 v146, 0x3f3d2fb0, v117, -v193
	s_delay_alu instid0(VALU_DEP_4) | instskip(SKIP_1) | instid1(VALU_DEP_3)
	v_add_f32_e32 v147, v151, v147
	v_fma_f32 v151, 0x3ee437d1, v91, -v157
	v_add_f32_e32 v146, v146, v145
	v_add_f32_e32 v145, v194, v144
	v_fma_f32 v153, 0xbf7ba420, v62, -v187
	s_delay_alu instid0(VALU_DEP_4) | instskip(SKIP_3) | instid1(VALU_DEP_3)
	v_add_f32_e32 v147, v151, v147
	v_fma_f32 v151, 0xbf7ba420, v99, -v159
	v_add_f32_e32 v144, v152, v146
	v_fma_f32 v152, 0xbf1a4643, v121, -v170
	v_dual_add_f32 v107, v153, v0 :: v_dual_add_f32 v146, v151, v147
	v_fma_f32 v147, 0x3dbcf732, v110, -v161
	s_delay_alu instid0(VALU_DEP_1) | instskip(SKIP_1) | instid1(VALU_DEP_2)
	v_dual_add_f32 v151, v181, v1 :: v_dual_add_f32 v146, v147, v146
	v_fma_f32 v147, 0x3f6eb680, v117, -v164
	v_add_f32_e32 v151, v197, v151
	v_fma_f32 v130, 0xbf1a4643, v99, -v207
	s_delay_alu instid0(VALU_DEP_3) | instskip(NEXT) | instid1(VALU_DEP_3)
	v_add_f32_e32 v146, v147, v146
	v_dual_add_f32 v147, v165, v150 :: v_dual_add_f32 v150, v200, v151
	v_fma_f32 v151, 0x3f6eb680, v69, -v202
	s_delay_alu instid0(VALU_DEP_3) | instskip(NEXT) | instid1(VALU_DEP_2)
	v_add_f32_e32 v146, v152, v146
	v_dual_add_f32 v150, v198, v150 :: v_dual_add_f32 v107, v151, v107
	v_fma_f32 v151, 0xbf59a7d5, v77, -v204
	s_delay_alu instid0(VALU_DEP_2) | instskip(NEXT) | instid1(VALU_DEP_2)
	v_dual_add_f32 v125, v196, v150 :: v_dual_mul_f32 v150, 0xbf7ba420, v73
	v_add_f32_e32 v107, v151, v107
	v_fmac_f32_e32 v205, 0x3f65296c, v136
	v_fma_f32 v136, 0x3ee437d1, v110, -v184
	s_delay_alu instid0(VALU_DEP_3) | instskip(SKIP_1) | instid1(VALU_DEP_2)
	v_dual_add_f32 v112, v112, v150 :: v_dual_add_f32 v107, v142, v107
	v_fma_f32 v142, 0xbe8c1d8e, v69, -v171
	v_dual_add_f32 v125, v205, v125 :: v_dual_add_f32 v104, v112, v104
	s_delay_alu instid0(VALU_DEP_3) | instskip(SKIP_1) | instid1(VALU_DEP_3)
	v_add_f32_e32 v107, v130, v107
	v_fma_f32 v130, 0xbf1a4643, v62, -v168
	v_dual_add_f32 v112, v119, v134 :: v_dual_add_f32 v125, v201, v125
	v_fma_f32 v134, 0xbf59a7d5, v91, -v175
	s_delay_alu instid0(VALU_DEP_3) | instskip(SKIP_1) | instid1(VALU_DEP_2)
	v_dual_add_f32 v107, v136, v107 :: v_dual_add_f32 v130, v130, v0
	v_fma_f32 v136, 0x3f6eb680, v77, -v173
	v_dual_add_f32 v104, v112, v104 :: v_dual_add_f32 v107, v137, v107
	s_delay_alu instid0(VALU_DEP_3) | instskip(NEXT) | instid1(VALU_DEP_1)
	v_add_f32_e32 v130, v142, v130
	v_add_f32_e32 v119, v136, v130
	v_mul_f32_e32 v130, 0x3f6eb680, v94
	v_fma_f32 v136, 0x3ee437d1, v121, -v143
	s_delay_alu instid0(VALU_DEP_2) | instskip(NEXT) | instid1(VALU_DEP_4)
	v_add_f32_e32 v112, v126, v130
	v_add_f32_e32 v119, v134, v119
	v_mul_f32_e32 v126, 0x3ee437d1, v103
	v_fma_f32 v130, 0x3dbcf732, v99, -v177
	v_fmac_f32_e32 v141, 0x3f65296c, v140
	v_add_f32_e32 v104, v112, v104
	v_mul_f32_e32 v134, 0x3f6eb680, v121
	s_delay_alu instid0(VALU_DEP_4) | instskip(SKIP_2) | instid1(VALU_DEP_3)
	v_dual_add_f32 v112, v131, v126 :: v_dual_add_f32 v119, v130, v119
	v_mul_f32_e32 v126, 0x3dbcf732, v62
	v_fma_f32 v131, 0x3f3d2fb0, v110, -v148
	v_add_f32_e32 v104, v112, v104
	v_mul_f32_e32 v112, 0xbf7ba420, v69
	s_delay_alu instid0(VALU_DEP_3) | instskip(SKIP_1) | instid1(VALU_DEP_3)
	v_dual_sub_f32 v90, v126, v90 :: v_dual_add_f32 v119, v131, v119
	v_fma_f32 v131, 0xbf7ba420, v117, -v149
	v_sub_f32_e32 v98, v112, v98
	s_delay_alu instid0(VALU_DEP_3) | instskip(SKIP_1) | instid1(VALU_DEP_2)
	v_add_f32_e32 v90, v90, v0
	v_mul_f32_e32 v112, 0xbe8c1d8e, v77
	v_add_f32_e32 v90, v98, v90
	s_delay_alu instid0(VALU_DEP_2) | instskip(SKIP_2) | instid1(VALU_DEP_3)
	v_sub_f32_e32 v98, v112, v108
	v_mul_f32_e32 v112, 0x3f6eb680, v91
	v_dual_add_f32 v108, v131, v119 :: v_dual_mul_f32 v119, 0x3f3d2fb0, v122
	v_dual_mul_f32 v131, 0xbf7ba420, v91 :: v_dual_add_f32 v90, v98, v90
	v_mul_f32_e32 v98, 0x3ee437d1, v63
	s_delay_alu instid0(VALU_DEP_4) | instskip(NEXT) | instid1(VALU_DEP_2)
	v_dual_sub_f32 v112, v112, v115 :: v_dual_mul_f32 v115, 0x3f6eb680, v62
	v_dual_add_f32 v119, v139, v119 :: v_dual_add_f32 v70, v70, v98
	v_mul_f32_e32 v98, 0x3ee437d1, v99
	s_delay_alu instid0(VALU_DEP_3) | instskip(NEXT) | instid1(VALU_DEP_3)
	v_add_f32_e32 v90, v112, v90
	v_add_f32_e32 v70, v70, v1
	s_delay_alu instid0(VALU_DEP_3) | instskip(SKIP_1) | instid1(VALU_DEP_2)
	v_sub_f32_e32 v98, v98, v124
	v_mul_f32_e32 v124, 0xbf7ba420, v79
	v_add_f32_e32 v90, v98, v90
	s_delay_alu instid0(VALU_DEP_2) | instskip(SKIP_1) | instid1(VALU_DEP_2)
	v_dual_mul_f32 v98, 0xbe8c1d8e, v94 :: v_dual_add_f32 v95, v95, v124
	v_mul_f32_e32 v124, 0x3f3d2fb0, v69
	v_dual_add_f32 v98, v105, v98 :: v_dual_mul_f32 v105, 0xbf1a4643, v117
	s_delay_alu instid0(VALU_DEP_1) | instskip(NEXT) | instid1(VALU_DEP_1)
	v_dual_mul_f32 v130, 0xbf59a7d5, v111 :: v_dual_sub_f32 v105, v105, v133
	v_add_f32_e32 v126, v135, v130
	v_mul_f32_e32 v130, 0xbf1a4643, v118
	v_fma_f32 v135, 0x3dbcf732, v121, -v180
	s_delay_alu instid0(VALU_DEP_3) | instskip(NEXT) | instid1(VALU_DEP_3)
	v_add_f32_e32 v104, v126, v104
	v_add_f32_e32 v126, v138, v130
	v_mul_f32_e32 v130, 0x3ee437d1, v77
	s_delay_alu instid0(VALU_DEP_2) | instskip(SKIP_1) | instid1(VALU_DEP_1)
	v_add_f32_e32 v104, v126, v104
	v_mul_f32_e32 v126, 0xbf1a4643, v73
	v_add_f32_e32 v80, v80, v126
	v_mul_f32_e32 v126, 0x3f3d2fb0, v62
	s_delay_alu instid0(VALU_DEP_2) | instskip(SKIP_1) | instid1(VALU_DEP_2)
	v_add_f32_e32 v70, v80, v70
	v_mul_f32_e32 v80, 0xbf59a7d5, v110
	v_dual_add_f32 v70, v95, v70 :: v_dual_mul_f32 v95, 0x3dbcf732, v69
	s_delay_alu instid0(VALU_DEP_2) | instskip(NEXT) | instid1(VALU_DEP_1)
	v_dual_mul_f32 v69, 0xbf1a4643, v69 :: v_dual_sub_f32 v80, v80, v128
	v_sub_f32_e32 v67, v69, v67
	v_mul_f32_e32 v69, 0x3dbcf732, v118
	s_delay_alu instid0(VALU_DEP_1) | instskip(SKIP_2) | instid1(VALU_DEP_2)
	v_add_f32_e32 v69, v129, v69
	v_mul_f32_e32 v129, 0xbf1a4643, v110
	v_add_f32_e32 v80, v80, v90
	v_dual_mul_f32 v90, 0x3f3d2fb0, v103 :: v_dual_sub_f32 v9, v129, v60
	s_delay_alu instid0(VALU_DEP_1) | instskip(SKIP_2) | instid1(VALU_DEP_1)
	v_add_f32_e32 v90, v114, v90
	v_mul_f32_e32 v114, 0xbf1a4643, v77
	v_mul_f32_e32 v77, 0xbf7ba420, v77
	v_sub_f32_e32 v76, v77, v76
	v_mul_f32_e32 v62, 0x3ee437d1, v62
	v_mul_f32_e32 v77, 0xbf59a7d5, v99
	s_delay_alu instid0(VALU_DEP_2) | instskip(NEXT) | instid1(VALU_DEP_1)
	v_dual_sub_f32 v55, v62, v55 :: v_dual_mul_f32 v62, 0xbf7ba420, v94
	v_add_f32_e32 v55, v55, v0
	s_delay_alu instid0(VALU_DEP_2) | instskip(NEXT) | instid1(VALU_DEP_2)
	v_add_f32_e32 v62, v71, v62
	v_add_f32_e32 v55, v67, v55
	v_mul_f32_e32 v67, 0x3f3d2fb0, v121
	v_mul_f32_e32 v112, 0x3f6eb680, v63
	;; [unrolled: 1-line block ×3, first 2 shown]
	s_delay_alu instid0(VALU_DEP_3) | instskip(NEXT) | instid1(VALU_DEP_2)
	v_sub_f32_e32 v67, v67, v132
	v_add_f32_e32 v51, v51, v63
	v_dual_mul_f32 v63, 0x3dbcf732, v117 :: v_dual_add_f32 v70, v98, v70
	v_mul_f32_e32 v98, 0x3ee437d1, v79
	v_mul_f32_e32 v79, 0xbf1a4643, v79
	s_delay_alu instid0(VALU_DEP_4) | instskip(SKIP_2) | instid1(VALU_DEP_4)
	v_dual_add_f32 v51, v51, v1 :: v_dual_add_f32 v80, v105, v80
	v_mul_f32_e32 v105, 0x3f6eb680, v111
	v_sub_f32_e32 v63, v63, v113
	v_dual_add_f32 v65, v65, v79 :: v_dual_add_f32 v70, v90, v70
	v_mul_f32_e32 v90, 0x3dbcf732, v91
	v_mul_f32_e32 v91, 0xbe8c1d8e, v91
	v_add_f32_e32 v105, v120, v105
	v_mul_f32_e32 v79, 0x3f6eb680, v122
	v_add_f32_e32 v55, v76, v55
	s_delay_alu instid0(VALU_DEP_4) | instskip(SKIP_3) | instid1(VALU_DEP_4)
	v_sub_f32_e32 v91, v91, v93
	v_mul_f32_e32 v128, 0x3f3d2fb0, v73
	v_mul_f32_e32 v73, 0x3dbcf732, v73
	;; [unrolled: 1-line block ×3, first 2 shown]
	v_dual_add_f32 v91, v91, v55 :: v_dual_mul_f32 v120, 0x3dbcf732, v94
	s_delay_alu instid0(VALU_DEP_3) | instskip(SKIP_3) | instid1(VALU_DEP_4)
	v_add_f32_e32 v59, v59, v73
	v_mul_f32_e32 v73, 0x3ee437d1, v117
	v_mul_f32_e32 v117, 0xbf7ba420, v121
	v_dual_mul_f32 v121, 0xbf59a7d5, v121 :: v_dual_add_f32 v70, v105, v70
	v_add_f32_e32 v133, v59, v51
	v_mul_f32_e32 v105, 0xbe8c1d8e, v103
	v_mul_f32_e32 v103, 0xbf59a7d5, v103
	v_add_f32_e32 v59, v119, v104
	v_dual_add_f32 v69, v69, v70 :: v_dual_mul_f32 v94, 0xbe8c1d8e, v99
	v_dual_mul_f32 v99, 0x3f3d2fb0, v99 :: v_dual_sub_f32 v48, v126, v48
	v_dual_add_f32 v65, v65, v133 :: v_dual_mul_f32 v76, 0xbe8c1d8e, v110
	v_mul_f32_e32 v132, 0xbf59a7d5, v118
	s_delay_alu instid0(VALU_DEP_3)
	v_dual_sub_f32 v96, v99, v96 :: v_dual_mul_f32 v99, 0xbf7ba420, v122
	v_mul_f32_e32 v122, 0xbf59a7d5, v122
	v_mul_f32_e32 v118, 0x3ee437d1, v118
	;; [unrolled: 1-line block ×3, first 2 shown]
	v_dual_mul_f32 v111, 0xbe8c1d8e, v111 :: v_dual_add_f32 v48, v48, v0
	v_sub_f32_e32 v17, v73, v82
	v_add_f32_e32 v104, v127, v122
	v_sub_f32_e32 v52, v95, v52
	v_dual_add_f32 v62, v62, v65 :: v_dual_add_f32 v65, v81, v103
	v_dual_add_f32 v91, v96, v91 :: v_dual_mul_f32 v110, 0x3f6eb680, v110
	s_delay_alu instid0(VALU_DEP_3) | instskip(SKIP_1) | instid1(VALU_DEP_4)
	v_add_f32_e32 v48, v52, v48
	v_sub_f32_e32 v52, v114, v58
	v_add_f32_e32 v58, v65, v62
	v_add_f32_e32 v65, v97, v111
	v_sub_f32_e32 v81, v121, v123
	v_add_f32_e32 v55, v141, v116
	v_add_f32_e32 v19, v47, v98
	s_delay_alu instid0(VALU_DEP_4) | instskip(SKIP_2) | instid1(VALU_DEP_2)
	v_dual_add_f32 v51, v179, v125 :: v_dual_add_f32 v58, v65, v58
	v_dual_add_f32 v65, v109, v118 :: v_dual_add_f32 v24, v100, v79
	v_add_f32_e32 v13, v61, v70
	v_add_f32_e32 v58, v65, v58
	s_delay_alu instid0(VALU_DEP_1) | instskip(SKIP_1) | instid1(VALU_DEP_1)
	v_add_f32_e32 v2, v24, v58
	v_add_f32_e32 v24, v43, v112
	v_dual_add_f32 v58, v67, v80 :: v_dual_add_f32 v1, v24, v1
	v_add_f32_e32 v24, v45, v128
	s_delay_alu instid0(VALU_DEP_1) | instskip(SKIP_2) | instid1(VALU_DEP_3)
	v_add_f32_e32 v1, v24, v1
	v_add_f32_e32 v48, v52, v48
	v_sub_f32_e32 v52, v131, v66
	v_add_f32_e32 v1, v19, v1
	v_add_f32_e32 v19, v50, v120
	s_delay_alu instid0(VALU_DEP_3) | instskip(SKIP_2) | instid1(VALU_DEP_4)
	v_add_f32_e32 v48, v52, v48
	v_sub_f32_e32 v52, v77, v64
	v_add_f32_e32 v50, v135, v107
	v_add_f32_e32 v1, v19, v1
	;; [unrolled: 1-line block ×3, first 2 shown]
	s_delay_alu instid0(VALU_DEP_4) | instskip(SKIP_2) | instid1(VALU_DEP_4)
	v_add_f32_e32 v25, v52, v48
	v_sub_f32_e32 v48, v76, v74
	v_sub_f32_e32 v96, v110, v106
	v_dual_add_f32 v54, v136, v108 :: v_dual_add_f32 v1, v19, v1
	s_delay_alu instid0(VALU_DEP_3) | instskip(NEXT) | instid1(VALU_DEP_3)
	v_add_f32_e32 v25, v48, v25
	v_add_f32_e32 v71, v96, v91
	s_delay_alu instid0(VALU_DEP_3) | instskip(SKIP_1) | instid1(VALU_DEP_3)
	v_dual_add_f32 v1, v13, v1 :: v_dual_add_f32 v16, v16, v26
	v_add_f32_e32 v13, v72, v132
	v_add_f32_e32 v71, v63, v71
	;; [unrolled: 1-line block ×3, first 2 shown]
	s_delay_alu instid0(VALU_DEP_4) | instskip(SKIP_1) | instid1(VALU_DEP_4)
	v_dual_add_f32 v63, v104, v69 :: v_dual_add_f32 v16, v18, v16
	v_sub_f32_e32 v18, v115, v42
	v_add_f32_e32 v62, v81, v71
	s_delay_alu instid0(VALU_DEP_3) | instskip(NEXT) | instid1(VALU_DEP_3)
	v_dual_add_f32 v1, v13, v1 :: v_dual_add_f32 v16, v28, v16
	v_add_f32_e32 v0, v18, v0
	v_sub_f32_e32 v18, v124, v44
	s_delay_alu instid0(VALU_DEP_3) | instskip(NEXT) | instid1(VALU_DEP_1)
	v_add_f32_e32 v16, v30, v16
	v_add_f32_e32 v16, v20, v16
	s_delay_alu instid0(VALU_DEP_1) | instskip(NEXT) | instid1(VALU_DEP_1)
	v_add_f32_e32 v16, v22, v16
	v_add_f32_e32 v12, v12, v16
	v_sub_f32_e32 v16, v94, v53
	s_delay_alu instid0(VALU_DEP_2) | instskip(NEXT) | instid1(VALU_DEP_1)
	v_add_f32_e32 v12, v14, v12
	v_add_f32_e32 v8, v8, v12
	v_sub_f32_e32 v12, v134, v83
	v_add_f32_e32 v0, v18, v0
	v_sub_f32_e32 v18, v130, v46
	s_delay_alu instid0(VALU_DEP_4) | instskip(SKIP_1) | instid1(VALU_DEP_3)
	v_add_f32_e32 v8, v10, v8
	v_add_f32_e32 v10, v78, v99
	;; [unrolled: 1-line block ×3, first 2 shown]
	s_delay_alu instid0(VALU_DEP_3) | instskip(SKIP_2) | instid1(VALU_DEP_1)
	v_add_f32_e32 v4, v4, v8
	v_sub_f32_e32 v8, v117, v75
	v_sub_f32_e32 v18, v90, v49
	v_add_f32_e32 v0, v18, v0
	s_delay_alu instid0(VALU_DEP_1) | instskip(NEXT) | instid1(VALU_DEP_1)
	v_add_f32_e32 v0, v16, v0
	v_add_f32_e32 v0, v9, v0
	v_sub_f32_e32 v9, v93, v68
	s_delay_alu instid0(VALU_DEP_1) | instskip(SKIP_3) | instid1(VALU_DEP_4)
	v_add_f32_e32 v0, v9, v0
	v_add_f32_e32 v9, v6, v4
	;; [unrolled: 1-line block ×3, first 2 shown]
	v_dual_add_f32 v6, v33, v7 :: v_dual_add_f32 v1, v12, v17
	v_add_f32_e32 v3, v8, v0
	s_delay_alu instid0(VALU_DEP_4)
	v_dual_add_f32 v5, v32, v9 :: v_dual_lshlrev_b32 v0, 3, v11
	ds_store_2addr_b64 v0, v[5:6], v[3:4] offset1:1
	ds_store_2addr_b64 v0, v[1:2], v[62:63] offset0:2 offset1:3
	ds_store_2addr_b64 v0, v[58:59], v[146:147] offset0:4 offset1:5
	;; [unrolled: 1-line block ×7, first 2 shown]
	ds_store_b64 v0, v[56:57] offset:128
.LBB0_7:
	s_wait_alu 0xfffe
	s_or_b32 exec_lo, exec_lo, s0
	v_and_b32_e32 v0, 0xff, v102
	s_load_b128 s[4:7], s[4:5], 0x0
	global_wb scope:SCOPE_SE
	s_wait_dscnt 0x0
	s_wait_kmcnt 0x0
	s_barrier_signal -1
	s_barrier_wait -1
	v_mul_lo_u16 v0, 0xf1, v0
	global_inv scope:SCOPE_SE
	v_cmp_gt_u16_e64 s0, 0x44, v102
	v_lshrrev_b16 v6, 12, v0
	s_delay_alu instid0(VALU_DEP_1) | instskip(SKIP_1) | instid1(VALU_DEP_2)
	v_mul_lo_u16 v0, v6, 17
	v_and_b32_e32 v6, 0xffff, v6
	v_sub_nc_u16 v0, v102, v0
	s_delay_alu instid0(VALU_DEP_2) | instskip(NEXT) | instid1(VALU_DEP_2)
	v_mul_u32_u24_e32 v6, 0xdd, v6
	v_and_b32_e32 v5, 0xff, v0
	s_delay_alu instid0(VALU_DEP_1) | instskip(NEXT) | instid1(VALU_DEP_1)
	v_mul_u32_u24_e32 v0, 12, v5
	v_lshlrev_b32_e32 v0, 3, v0
	s_clause 0x5
	global_load_b128 v[36:39], v0, s[2:3]
	global_load_b128 v[32:35], v0, s[2:3] offset:16
	global_load_b128 v[24:27], v0, s[2:3] offset:32
	;; [unrolled: 1-line block ×5, first 2 shown]
	v_add_nc_u32_e32 v7, 0x1000, v101
	ds_load_2addr_b64 v[0:3], v101 offset1:153
	ds_load_2addr_b64 v[49:52], v7 offset0:100 offset1:253
	v_add_nc_u32_e32 v4, 0x800, v101
	v_add_nc_u32_e32 v7, 0x2400, v101
	s_wait_loadcnt_dscnt 0x501
	v_mul_f32_e32 v14, v3, v37
	s_wait_loadcnt_dscnt 0x400
	v_mul_f32_e32 v44, v49, v35
	v_mul_f32_e32 v41, v50, v35
	ds_load_2addr_b64 v[45:48], v4 offset0:50 offset1:203
	v_add_nc_u32_e32 v4, 0x1c00, v101
	v_mul_f32_e32 v55, v2, v37
	v_fma_f32 v79, v2, v36, -v14
	ds_load_2addr_b64 v[58:61], v4 offset0:22 offset1:175
	v_add_nc_u32_e32 v4, 0x2e00, v101
	ds_load_2addr_b64 v[62:65], v7 offset0:72 offset1:225
	ds_load_2addr_b64 v[66:69], v4 offset0:58 offset1:211
	ds_load_b64 v[53:54], v101 offset:14688
	s_wait_loadcnt 0x3
	v_mul_f32_e32 v43, v52, v25
	v_fmac_f32_e32 v55, v3, v36
	global_wb scope:SCOPE_SE
	s_wait_loadcnt_dscnt 0x0
	s_barrier_signal -1
	s_barrier_wait -1
	global_inv scope:SCOPE_SE
	v_mul_f32_e32 v15, v46, v39
	v_mul_f32_e32 v70, v45, v39
	;; [unrolled: 1-line block ×4, first 2 shown]
	s_delay_alu instid0(VALU_DEP_4)
	v_fma_f32 v80, v45, v38, -v15
	v_dual_mul_f32 v72, v59, v27 :: v_dual_mul_f32 v73, v61, v17
	v_mul_f32_e32 v7, v58, v27
	v_dual_mul_f32 v74, v63, v19 :: v_dual_mul_f32 v9, v64, v29
	v_dual_mul_f32 v78, v54, v23 :: v_dual_mul_f32 v11, v68, v21
	v_mul_f32_e32 v12, v53, v23
	v_mul_f32_e32 v10, v66, v31
	v_dual_mul_f32 v42, v51, v25 :: v_dual_fmac_f32 v71, v48, v32
	v_dual_mul_f32 v77, v69, v21 :: v_dual_fmac_f32 v70, v46, v38
	v_fma_f32 v2, v53, v22, -v78
	v_fmac_f32_e32 v12, v54, v22
	v_dual_mul_f32 v8, v60, v17 :: v_dual_fmac_f32 v7, v59, v26
	v_mul_f32_e32 v13, v62, v19
	v_dual_mul_f32 v75, v65, v29 :: v_dual_mul_f32 v76, v67, v31
	v_fma_f32 v47, v47, v32, -v40
	v_fma_f32 v46, v49, v34, -v41
	v_dual_fmac_f32 v44, v50, v34 :: v_dual_fmac_f32 v9, v65, v28
	v_fma_f32 v45, v51, v24, -v43
	v_dual_fmac_f32 v42, v52, v24 :: v_dual_fmac_f32 v13, v63, v18
	v_fma_f32 v43, v58, v26, -v72
	v_fma_f32 v41, v60, v16, -v73
	;; [unrolled: 1-line block ×3, first 2 shown]
	v_dual_fmac_f32 v10, v67, v30 :: v_dual_fmac_f32 v11, v69, v20
	v_fma_f32 v3, v68, v20, -v77
	v_add_f32_e32 v49, v1, v55
	v_dual_add_f32 v48, v0, v79 :: v_dual_add_f32 v51, v55, v12
	v_dual_sub_f32 v52, v79, v2 :: v_dual_add_f32 v65, v44, v9
	s_delay_alu instid0(VALU_DEP_4)
	v_dual_sub_f32 v53, v55, v12 :: v_dual_add_f32 v54, v80, v3
	v_dual_fmac_f32 v8, v61, v16 :: v_dual_add_f32 v55, v70, v11
	v_fma_f32 v15, v64, v28, -v75
	v_fma_f32 v14, v66, v30, -v76
	v_dual_add_f32 v50, v79, v2 :: v_dual_sub_f32 v59, v70, v11
	v_dual_sub_f32 v58, v80, v3 :: v_dual_add_f32 v61, v71, v10
	s_delay_alu instid0(VALU_DEP_4)
	v_dual_sub_f32 v63, v71, v10 :: v_dual_add_f32 v64, v46, v15
	v_sub_f32_e32 v72, v45, v40
	v_dual_add_f32 v74, v43, v41 :: v_dual_add_f32 v49, v49, v70
	v_dual_add_f32 v48, v48, v80 :: v_dual_mul_f32 v95, 0xbf6f5d39, v59
	v_dual_mul_f32 v70, 0xbeedf032, v53 :: v_dual_mul_f32 v77, 0xbeedf032, v52
	v_dual_add_f32 v60, v47, v14 :: v_dual_sub_f32 v67, v44, v9
	v_dual_sub_f32 v62, v47, v14 :: v_dual_add_f32 v69, v42, v13
	v_dual_sub_f32 v66, v46, v15 :: v_dual_sub_f32 v75, v43, v41
	v_dual_add_f32 v68, v45, v40 :: v_dual_sub_f32 v73, v42, v13
	v_dual_sub_f32 v76, v7, v8 :: v_dual_mul_f32 v93, 0xbf52af12, v59
	v_dual_mul_f32 v78, 0xbf52af12, v53 :: v_dual_mul_f32 v79, 0xbf52af12, v52
	v_dual_mul_f32 v80, 0xbf7e222b, v53 :: v_dual_mul_f32 v81, 0xbf7e222b, v52
	;; [unrolled: 1-line block ×5, first 2 shown]
	v_mul_f32_e32 v97, 0xbe750f2a, v59
	v_dual_mul_f32 v94, 0xbf52af12, v58 :: v_dual_mul_f32 v113, 0xbf52af12, v63
	v_dual_mul_f32 v96, 0xbf6f5d39, v58 :: v_dual_mul_f32 v115, 0xbf6f5d39, v67
	;; [unrolled: 1-line block ×7, first 2 shown]
	v_dual_mul_f32 v130, 0xbf52af12, v72 :: v_dual_add_f32 v47, v48, v47
	v_dual_add_f32 v48, v49, v71 :: v_dual_fmamk_f32 v71, v51, 0x3f62ad3f, v77
	v_fma_f32 v49, 0x3f62ad3f, v50, -v70
	v_dual_mul_f32 v108, 0xbe750f2a, v62 :: v_dual_mul_f32 v135, 0xbe750f2a, v76
	v_dual_mul_f32 v109, 0x3f6f5d39, v63 :: v_dual_mul_f32 v110, 0x3f6f5d39, v62
	;; [unrolled: 1-line block ×5, first 2 shown]
	v_mul_f32_e32 v116, 0xbf6f5d39, v66
	v_dual_mul_f32 v125, 0xbf29c268, v73 :: v_dual_mul_f32 v126, 0xbf29c268, v72
	v_dual_mul_f32 v127, 0x3f7e222b, v73 :: v_dual_mul_f32 v128, 0x3f7e222b, v72
	;; [unrolled: 1-line block ×5, first 2 shown]
	v_fmac_f32_e32 v70, 0x3f62ad3f, v50
	v_fma_f32 v77, 0x3f62ad3f, v51, -v77
	v_fma_f32 v136, 0x3f116cb1, v50, -v78
	v_dual_fmamk_f32 v137, v51, 0x3f116cb1, v79 :: v_dual_fmac_f32 v78, 0x3f116cb1, v50
	v_fma_f32 v79, 0x3f116cb1, v51, -v79
	v_fma_f32 v138, 0x3df6dbef, v50, -v80
	v_dual_fmamk_f32 v139, v51, 0x3df6dbef, v81 :: v_dual_fmac_f32 v80, 0x3df6dbef, v50
	;; [unrolled: 3-line block ×4, first 2 shown]
	v_fma_f32 v91, 0xbf3f9e67, v51, -v91
	v_fma_f32 v144, 0xbf788fa5, v50, -v53
	v_dual_fmamk_f32 v145, v51, 0xbf788fa5, v52 :: v_dual_add_f32 v44, v48, v44
	v_dual_fmac_f32 v53, 0xbf788fa5, v50 :: v_dual_add_f32 v48, v1, v71
	v_fma_f32 v50, 0xbf788fa5, v51, -v52
	v_fma_f32 v51, 0x3f116cb1, v54, -v93
	v_dual_fmamk_f32 v52, v55, 0x3f116cb1, v94 :: v_dual_fmac_f32 v93, 0x3f116cb1, v54
	v_fma_f32 v94, 0x3f116cb1, v55, -v94
	v_fma_f32 v146, 0xbeb58ec6, v54, -v95
	v_fmamk_f32 v147, v55, 0xbeb58ec6, v96
	v_fmac_f32_e32 v95, 0xbeb58ec6, v54
	v_fma_f32 v96, 0xbeb58ec6, v55, -v96
	v_fma_f32 v148, 0xbf788fa5, v54, -v97
	v_fmamk_f32 v149, v55, 0xbf788fa5, v98
	v_fmac_f32_e32 v97, 0xbf788fa5, v54
	;; [unrolled: 4-line block ×3, first 2 shown]
	v_fma_f32 v100, 0xbf3f9e67, v55, -v100
	v_fma_f32 v152, 0x3df6dbef, v54, -v103
	v_dual_fmamk_f32 v153, v55, 0x3df6dbef, v104 :: v_dual_add_f32 v80, v0, v80
	v_fmac_f32_e32 v103, 0x3df6dbef, v54
	v_fma_f32 v104, 0x3df6dbef, v55, -v104
	v_fma_f32 v154, 0x3f62ad3f, v54, -v59
	v_fmamk_f32 v155, v55, 0x3f62ad3f, v58
	v_fmac_f32_e32 v59, 0x3f62ad3f, v54
	v_fma_f32 v54, 0x3f62ad3f, v55, -v58
	v_fma_f32 v55, 0x3df6dbef, v60, -v105
	v_dual_fmac_f32 v105, 0x3df6dbef, v60 :: v_dual_add_f32 v46, v47, v46
	v_add_f32_e32 v47, v0, v49
	v_dual_mul_f32 v123, 0x3e750f2a, v67 :: v_dual_mul_f32 v124, 0x3e750f2a, v66
	v_fmamk_f32 v58, v61, 0x3df6dbef, v106
	v_dual_fmamk_f32 v161, v61, 0x3f62ad3f, v112 :: v_dual_add_f32 v42, v44, v42
	s_delay_alu instid0(VALU_DEP_4)
	v_dual_fmamk_f32 v163, v61, 0x3f116cb1, v114 :: v_dual_add_f32 v44, v51, v47
	v_fmamk_f32 v165, v61, 0xbf3f9e67, v62
	v_dual_add_f32 v45, v46, v45 :: v_dual_add_f32 v46, v52, v48
	v_fma_f32 v106, 0x3df6dbef, v61, -v106
	v_fma_f32 v156, 0xbf788fa5, v60, -v107
	v_dual_fmamk_f32 v157, v61, 0xbf788fa5, v108 :: v_dual_add_f32 v82, v0, v82
	v_dual_fmac_f32 v107, 0xbf788fa5, v60 :: v_dual_add_f32 v90, v0, v90
	v_fma_f32 v108, 0xbf788fa5, v61, -v108
	v_fma_f32 v158, 0xbeb58ec6, v60, -v109
	v_fmamk_f32 v159, v61, 0xbeb58ec6, v110
	v_fmac_f32_e32 v109, 0xbeb58ec6, v60
	v_fma_f32 v110, 0xbeb58ec6, v61, -v110
	v_fma_f32 v160, 0x3f62ad3f, v60, -v111
	v_fmac_f32_e32 v111, 0x3f62ad3f, v60
	v_fma_f32 v112, 0x3f62ad3f, v61, -v112
	v_fma_f32 v162, 0x3f116cb1, v60, -v113
	;; [unrolled: 1-line block ×4, first 2 shown]
	v_dual_fmamk_f32 v173, v65, 0xbf788fa5, v124 :: v_dual_add_f32 v44, v55, v44
	v_dual_add_f32 v71, v0, v136 :: v_dual_add_f32 v136, v1, v139
	v_dual_add_f32 v49, v0, v70 :: v_dual_add_f32 v70, v1, v77
	v_fmac_f32_e32 v113, 0x3f116cb1, v60
	v_dual_add_f32 v77, v0, v78 :: v_dual_add_f32 v78, v1, v79
	v_fmac_f32_e32 v63, 0xbf3f9e67, v60
	v_fma_f32 v60, 0xbf3f9e67, v61, -v62
	v_fma_f32 v61, 0xbeb58ec6, v64, -v115
	v_fmamk_f32 v62, v65, 0xbeb58ec6, v116
	v_dual_add_f32 v52, v96, v78 :: v_dual_add_f32 v43, v45, v43
	v_add_f32_e32 v45, v58, v46
	v_dual_mul_f32 v117, 0x3f29c268, v67 :: v_dual_mul_f32 v118, 0x3f29c268, v66
	v_dual_mul_f32 v119, 0x3eedf032, v67 :: v_dual_mul_f32 v120, 0x3eedf032, v66
	;; [unrolled: 1-line block ×4, first 2 shown]
	v_fma_f32 v182, 0x3f62ad3f, v68, -v133
	v_dual_fmac_f32 v133, 0x3f62ad3f, v68 :: v_dual_add_f32 v48, v94, v70
	v_add_f32_e32 v41, v43, v41
	v_dual_add_f32 v43, v61, v44 :: v_dual_add_f32 v44, v62, v45
	v_add_f32_e32 v47, v93, v49
	v_add_f32_e32 v49, v146, v71
	v_fma_f32 v172, 0xbf788fa5, v64, -v123
	v_fmac_f32_e32 v123, 0xbf788fa5, v64
	v_fmamk_f32 v175, v65, 0x3f116cb1, v66
	v_dual_add_f32 v46, v105, v47 :: v_dual_add_f32 v47, v106, v48
	v_dual_add_f32 v48, v156, v49 :: v_dual_add_f32 v83, v1, v83
	v_fma_f32 v116, 0xbeb58ec6, v65, -v116
	v_fma_f32 v166, 0xbf3f9e67, v64, -v117
	v_fmamk_f32 v167, v65, 0xbf3f9e67, v118
	v_fma_f32 v118, 0xbf3f9e67, v65, -v118
	v_fma_f32 v168, 0x3f62ad3f, v64, -v119
	v_fmamk_f32 v169, v65, 0x3f62ad3f, v120
	;; [unrolled: 3-line block ×3, first 2 shown]
	v_dual_fmac_f32 v121, 0x3df6dbef, v64 :: v_dual_add_f32 v42, v42, v7
	v_fma_f32 v122, 0x3df6dbef, v65, -v122
	v_fma_f32 v124, 0xbf788fa5, v65, -v124
	;; [unrolled: 1-line block ×5, first 2 shown]
	v_fmac_f32_e32 v129, 0x3f116cb1, v68
	v_fma_f32 v180, 0xbf788fa5, v68, -v131
	v_fma_f32 v184, 0xbeb58ec6, v68, -v73
	v_dual_fmamk_f32 v185, v69, 0xbeb58ec6, v72 :: v_dual_add_f32 v42, v42, v8
	v_fmac_f32_e32 v73, 0xbeb58ec6, v68
	v_add_f32_e32 v79, v0, v138
	v_add_f32_e32 v81, v1, v81
	v_dual_fmac_f32 v115, 0xbeb58ec6, v64 :: v_dual_add_f32 v138, v1, v141
	v_fmac_f32_e32 v117, 0xbf3f9e67, v64
	v_add_f32_e32 v139, v0, v142
	v_add_f32_e32 v91, v1, v91
	v_dual_fmac_f32 v119, 0x3f62ad3f, v64 :: v_dual_add_f32 v142, v1, v145
	v_add_f32_e32 v51, v95, v77
	v_fmac_f32_e32 v67, 0x3f116cb1, v64
	v_fma_f32 v64, 0x3f116cb1, v65, -v66
	v_fma_f32 v65, 0xbf3f9e67, v68, -v125
	v_fmac_f32_e32 v125, 0xbf3f9e67, v68
	v_add_f32_e32 v71, v97, v80
	v_dual_fmac_f32 v127, 0x3df6dbef, v68 :: v_dual_add_f32 v80, v100, v83
	v_add_f32_e32 v83, v103, v90
	v_fmac_f32_e32 v131, 0xbf788fa5, v68
	v_fma_f32 v68, 0xbeb58ec6, v69, -v72
	v_dual_add_f32 v72, v1, v137 :: v_dual_add_f32 v137, v0, v140
	v_add_f32_e32 v140, v1, v143
	v_add_f32_e32 v1, v1, v50
	v_fmamk_f32 v66, v69, 0xbf3f9e67, v126
	s_delay_alu instid0(VALU_DEP_4) | instskip(SKIP_4) | instid1(VALU_DEP_4)
	v_add_f32_e32 v50, v147, v72
	v_add_f32_e32 v72, v98, v81
	v_fma_f32 v126, 0xbf3f9e67, v69, -v126
	v_dual_add_f32 v1, v54, v1 :: v_dual_add_f32 v54, v109, v71
	v_add_f32_e32 v45, v115, v46
	v_dual_add_f32 v55, v110, v72 :: v_dual_add_f32 v46, v116, v47
	s_delay_alu instid0(VALU_DEP_3) | instskip(SKIP_3) | instid1(VALU_DEP_4)
	v_dual_add_f32 v1, v60, v1 :: v_dual_add_f32 v70, v149, v136
	v_add_f32_e32 v78, v151, v138
	v_add_nc_u32_e32 v96, 0x1b00, v101
	v_add_lshl_u32 v103, v6, v5, 3
	v_add_f32_e32 v64, v64, v1
	v_add_f32_e32 v1, v42, v13
	v_add_f32_e32 v49, v157, v50
	v_add_f32_e32 v42, v126, v46
	v_add_f32_e32 v50, v107, v51
	s_delay_alu instid0(VALU_DEP_4) | instskip(SKIP_3) | instid1(VALU_DEP_4)
	v_dual_add_f32 v64, v68, v64 :: v_dual_add_f32 v1, v1, v9
	v_mul_f32_e32 v9, 0x3eedf032, v76
	v_add_f32_e32 v13, v65, v43
	v_dual_add_f32 v90, v104, v91 :: v_dual_add_nc_u32 v97, 0xd00, v101
	v_dual_add_f32 v1, v1, v10 :: v_dual_mul_f32 v10, 0x3eedf032, v75
	v_add_f32_e32 v71, v112, v80
	v_add_f32_e32 v141, v0, v144
	s_delay_alu instid0(VALU_DEP_3) | instskip(SKIP_1) | instid1(VALU_DEP_4)
	v_dual_add_f32 v0, v0, v53 :: v_dual_add_f32 v1, v1, v11
	v_fma_f32 v11, 0x3f62ad3f, v74, -v9
	v_dual_add_f32 v60, v122, v71 :: v_dual_fmac_f32 v9, 0x3f62ad3f, v74
	s_delay_alu instid0(VALU_DEP_3) | instskip(SKIP_3) | instid1(VALU_DEP_4)
	v_dual_add_f32 v0, v59, v0 :: v_dual_fmamk_f32 v183, v69, 0x3f62ad3f, v134
	v_fma_f32 v134, 0x3f62ad3f, v69, -v134
	v_add_f32_e32 v51, v108, v52
	v_add_f32_e32 v47, v166, v48
	;; [unrolled: 1-line block ×3, first 2 shown]
	v_dual_add_f32 v48, v167, v49 :: v_dual_add_f32 v1, v1, v12
	v_mul_f32_e32 v12, 0xbf29c268, v75
	v_add_nc_u32_e32 v95, 0x2900, v101
	s_delay_alu instid0(VALU_DEP_4)
	v_add_f32_e32 v67, v67, v0
	v_add_f32_e32 v0, v41, v40
	;; [unrolled: 1-line block ×3, first 2 shown]
	v_dual_add_f32 v66, v7, v8 :: v_dual_add_f32 v49, v117, v50
	v_add_f32_e32 v50, v118, v51
	v_add_f32_e32 v53, v148, v79
	v_dual_add_f32 v79, v99, v82 :: v_dual_add_f32 v0, v0, v15
	v_fmamk_f32 v179, v69, 0x3f116cb1, v130
	v_fma_f32 v130, 0x3f116cb1, v69, -v130
	s_delay_alu instid0(VALU_DEP_4) | instskip(NEXT) | instid1(VALU_DEP_4)
	v_dual_add_f32 v52, v158, v53 :: v_dual_add_f32 v53, v159, v70
	v_dual_add_f32 v70, v111, v79 :: v_dual_add_f32 v41, v125, v45
	v_add_f32_e32 v59, v161, v78
	s_delay_alu instid0(VALU_DEP_3) | instskip(SKIP_4) | instid1(VALU_DEP_4)
	v_dual_add_f32 v51, v168, v52 :: v_dual_add_f32 v52, v169, v53
	v_add_f32_e32 v77, v150, v137
	v_fmamk_f32 v177, v69, 0x3df6dbef, v128
	v_fma_f32 v128, 0x3df6dbef, v69, -v128
	v_dual_add_f32 v53, v119, v54 :: v_dual_add_f32 v54, v120, v55
	v_add_f32_e32 v58, v160, v77
	v_add_f32_e32 v0, v0, v14
	;; [unrolled: 1-line block ×3, first 2 shown]
	v_dual_add_f32 v45, v127, v49 :: v_dual_add_f32 v46, v128, v50
	s_delay_alu instid0(VALU_DEP_4) | instskip(SKIP_3) | instid1(VALU_DEP_3)
	v_dual_add_f32 v55, v170, v58 :: v_dual_add_f32 v58, v171, v59
	v_dual_add_f32 v81, v152, v139 :: v_dual_add_f32 v50, v130, v54
	v_add_f32_e32 v0, v0, v3
	v_mul_f32_e32 v3, 0xbe750f2a, v75
	v_dual_add_f32 v59, v121, v70 :: v_dual_add_f32 v72, v162, v81
	v_dual_add_f32 v68, v9, v45 :: v_dual_add_f32 v43, v176, v47
	s_delay_alu instid0(VALU_DEP_3) | instskip(NEXT) | instid1(VALU_DEP_3)
	v_dual_fmamk_f32 v7, v66, 0xbf788fa5, v3 :: v_dual_add_f32 v44, v177, v48
	v_add_f32_e32 v61, v172, v72
	v_add_f32_e32 v48, v179, v52
	v_fma_f32 v8, 0xbf788fa5, v66, -v3
	s_delay_alu instid0(VALU_DEP_4) | instskip(NEXT) | instid1(VALU_DEP_4)
	v_add_f32_e32 v3, v7, v40
	v_dual_add_f32 v7, v11, v43 :: v_dual_add_f32 v14, v182, v61
	v_dual_add_f32 v78, v113, v83 :: v_dual_add_f32 v91, v154, v141
	v_dual_add_f32 v52, v131, v59 :: v_dual_fmamk_f32 v181, v69, 0xbf788fa5, v132
	v_fma_f32 v132, 0xbf788fa5, v69, -v132
	v_fma_f32 v69, 0xbf788fa5, v74, -v135
	s_delay_alu instid0(VALU_DEP_4) | instskip(SKIP_2) | instid1(VALU_DEP_4)
	v_dual_add_f32 v80, v164, v91 :: v_dual_mul_f32 v11, 0xbf29c268, v76
	v_dual_add_f32 v81, v165, v93 :: v_dual_mul_f32 v40, 0x3f52af12, v76
	v_dual_add_f32 v47, v178, v51 :: v_dual_add_f32 v0, v0, v2
	v_add_f32_e32 v2, v69, v13
	s_delay_alu instid0(VALU_DEP_4) | instskip(SKIP_3) | instid1(VALU_DEP_4)
	v_fma_f32 v13, 0xbf3f9e67, v74, -v11
	v_dual_add_f32 v82, v153, v140 :: v_dual_add_f32 v63, v123, v78
	v_add_f32_e32 v71, v174, v80
	v_add_f32_e32 v79, v114, v90
	;; [unrolled: 1-line block ×3, first 2 shown]
	v_fma_f32 v13, 0x3f116cb1, v74, -v40
	v_fmac_f32_e32 v40, 0x3f116cb1, v74
	s_delay_alu instid0(VALU_DEP_4) | instskip(SKIP_1) | instid1(VALU_DEP_3)
	v_dual_add_f32 v15, v181, v58 :: v_dual_add_f32 v70, v124, v79
	v_fmac_f32_e32 v135, 0xbf788fa5, v74
	v_dual_fmac_f32 v11, 0xbf3f9e67, v74 :: v_dual_add_f32 v58, v40, v52
	v_add_f32_e32 v51, v180, v55
	v_add_f32_e32 v55, v133, v63
	;; [unrolled: 1-line block ×3, first 2 shown]
	v_dual_add_f32 v71, v8, v42 :: v_dual_fmamk_f32 v8, v66, 0x3f62ad3f, v10
	v_add_f32_e32 v77, v163, v82
	v_fma_f32 v10, 0x3f62ad3f, v66, -v10
	v_dual_mul_f32 v42, 0xbf6f5d39, v76 :: v_dual_mul_f32 v43, 0xbf6f5d39, v75
	s_delay_alu instid0(VALU_DEP_4) | instskip(NEXT) | instid1(VALU_DEP_3)
	v_add_f32_e32 v8, v8, v44
	v_dual_add_f32 v62, v173, v77 :: v_dual_add_f32 v69, v10, v46
	v_fmamk_f32 v10, v66, 0xbf3f9e67, v12
	v_fma_f32 v12, 0xbf3f9e67, v66, -v12
	v_add_f32_e32 v72, v175, v81
	s_delay_alu instid0(VALU_DEP_4)
	v_add_f32_e32 v54, v183, v62
	v_add_f32_e32 v62, v134, v70
	v_dual_add_f32 v70, v135, v41 :: v_dual_mul_f32 v41, 0x3f52af12, v75
	v_add_f32_e32 v61, v12, v50
	v_add_f32_e32 v65, v185, v72
	v_dual_add_f32 v67, v73, v67 :: v_dual_add_f32 v10, v10, v48
	s_delay_alu instid0(VALU_DEP_4) | instskip(NEXT) | instid1(VALU_DEP_1)
	v_fmamk_f32 v12, v66, 0x3f116cb1, v41
                                        ; implicit-def: $vgpr90
	v_dual_add_f32 v12, v12, v15 :: v_dual_add_f32 v49, v129, v53
	v_add_f32_e32 v53, v132, v60
	s_delay_alu instid0(VALU_DEP_2) | instskip(SKIP_3) | instid1(VALU_DEP_2)
	v_dual_fmamk_f32 v15, v66, 0xbeb58ec6, v43 :: v_dual_add_f32 v60, v11, v49
	v_add_f32_e32 v11, v13, v51
	v_fma_f32 v13, 0x3f116cb1, v66, -v41
	v_fma_f32 v41, 0xbeb58ec6, v74, -v42
	v_dual_fmac_f32 v42, 0xbeb58ec6, v74 :: v_dual_add_f32 v59, v13, v53
	s_delay_alu instid0(VALU_DEP_2) | instskip(SKIP_3) | instid1(VALU_DEP_3)
	v_add_f32_e32 v13, v41, v14
	v_fma_f32 v41, 0xbeb58ec6, v66, -v43
	v_dual_add_f32 v14, v15, v54 :: v_dual_mul_f32 v15, 0x3f7e222b, v76
	v_mul_f32_e32 v43, 0x3f7e222b, v75
	v_dual_add_f32 v40, v42, v55 :: v_dual_add_f32 v41, v41, v62
	s_delay_alu instid0(VALU_DEP_3) | instskip(NEXT) | instid1(VALU_DEP_3)
	v_fma_f32 v42, 0x3df6dbef, v74, -v15
	v_fmamk_f32 v44, v66, 0x3df6dbef, v43
	v_fmac_f32_e32 v15, 0x3df6dbef, v74
	v_fma_f32 v45, 0x3df6dbef, v66, -v43
	s_delay_alu instid0(VALU_DEP_3) | instskip(NEXT) | instid1(VALU_DEP_2)
	v_dual_add_f32 v42, v42, v63 :: v_dual_add_f32 v43, v44, v65
	v_dual_add_f32 v44, v15, v67 :: v_dual_add_f32 v45, v45, v64
	ds_store_2addr_b64 v103, v[0:1], v[2:3] offset1:17
	ds_store_2addr_b64 v103, v[7:8], v[9:10] offset0:34 offset1:51
	ds_store_2addr_b64 v103, v[11:12], v[13:14] offset0:68 offset1:85
	;; [unrolled: 1-line block ×5, first 2 shown]
	ds_store_b64 v103, v[70:71] offset:1632
	global_wb scope:SCOPE_SE
	s_wait_dscnt 0x0
	s_barrier_signal -1
	s_barrier_wait -1
	global_inv scope:SCOPE_SE
	ds_load_2addr_b64 v[64:67], v101 offset1:221
	ds_load_2addr_b64 v[80:83], v97 offset0:26 offset1:247
	ds_load_2addr_b64 v[76:79], v96 offset0:20 offset1:241
	;; [unrolled: 1-line block ×3, first 2 shown]
	ds_load_b64 v[62:63], v101 offset:14144
	s_and_saveexec_b32 s1, s0
	s_cbranch_execz .LBB0_9
; %bb.8:
	v_add_nc_u32_e32 v0, 0x2000, v101
	ds_load_2addr_b64 v[54:57], v4 offset0:7 offset1:228
	ds_load_2addr_b64 v[0:3], v0 offset0:13 offset1:234
	v_add_nc_u32_e32 v4, 0x400, v101
	s_wait_dscnt 0x1
	v_dual_mov_b32 v84, v54 :: v_dual_add_nc_u32 v5, 0x1200, v101
	s_wait_dscnt 0x0
	v_mov_b32_e32 v87, v3
	ds_load_b64 v[90:91], v101 offset:15368
	ds_load_2addr_b64 v[58:61], v4 offset0:25 offset1:246
	ds_load_2addr_b64 v[68:71], v5 offset0:19 offset1:240
	v_dual_mov_b32 v85, v55 :: v_dual_mov_b32 v86, v2
	v_dual_mov_b32 v89, v1 :: v_dual_mov_b32 v88, v0
.LBB0_9:
	s_wait_alu 0xfffe
	s_or_b32 exec_lo, exec_lo, s1
	v_lshlrev_b32_e32 v0, 6, v102
	s_clause 0x3
	global_load_b128 v[52:55], v0, s[2:3] offset:1632
	global_load_b128 v[48:51], v0, s[2:3] offset:1648
	;; [unrolled: 1-line block ×4, first 2 shown]
	v_add_co_u32 v0, s1, 0x99, v102
	s_wait_alu 0xf1ff
	v_add_co_ci_u32_e64 v1, null, 0, 0, s1
	v_add_co_u32 v2, s1, 0xffffffbc, v102
	s_wait_alu 0xf1ff
	v_add_co_ci_u32_e64 v3, null, 0, -1, s1
	s_delay_alu instid0(VALU_DEP_2) | instskip(NEXT) | instid1(VALU_DEP_2)
	v_cndmask_b32_e64 v0, v2, v0, s0
	v_cndmask_b32_e64 v1, v3, v1, s0
	s_delay_alu instid0(VALU_DEP_1) | instskip(NEXT) | instid1(VALU_DEP_1)
	v_lshlrev_b64_e32 v[0:1], 6, v[0:1]
	v_add_co_u32 v4, s1, s2, v0
	s_wait_alu 0xf1ff
	s_delay_alu instid0(VALU_DEP_2)
	v_add_co_ci_u32_e64 v5, s1, s3, v1, s1
	s_clause 0x3
	global_load_b128 v[0:3], v[4:5], off offset:1632
	global_load_b128 v[8:11], v[4:5], off offset:1648
	;; [unrolled: 1-line block ×4, first 2 shown]
	s_wait_loadcnt_dscnt 0x704
	v_mul_f32_e32 v93, v67, v53
	s_wait_dscnt 0x3
	v_dual_mul_f32 v94, v66, v53 :: v_dual_mul_f32 v99, v80, v55
	s_wait_loadcnt_dscnt 0x502
	v_dual_mul_f32 v98, v81, v55 :: v_dual_mul_f32 v107, v79, v45
	v_dual_mul_f32 v100, v83, v49 :: v_dual_mul_f32 v105, v77, v51
	s_wait_dscnt 0x1
	v_dual_mul_f32 v104, v82, v49 :: v_dual_mul_f32 v109, v73, v47
	s_wait_loadcnt 0x4
	v_dual_mul_f32 v106, v76, v51 :: v_dual_mul_f32 v111, v75, v41
	s_wait_dscnt 0x0
	v_dual_mul_f32 v108, v78, v45 :: v_dual_mul_f32 v113, v63, v43
	v_dual_mul_f32 v110, v72, v47 :: v_dual_fmac_f32 v99, v81, v54
	v_fma_f32 v66, v66, v52, -v93
	v_fmac_f32_e32 v94, v67, v52
	v_fma_f32 v67, v80, v54, -v98
	v_fma_f32 v80, v82, v48, -v100
	;; [unrolled: 1-line block ×3, first 2 shown]
	v_mul_f32_e32 v114, v62, v43
	v_fmac_f32_e32 v110, v73, v46
	v_fmac_f32_e32 v108, v79, v44
	v_fma_f32 v76, v76, v50, -v105
	s_delay_alu instid0(VALU_DEP_4)
	v_dual_add_f32 v79, v80, v72 :: v_dual_fmac_f32 v114, v63, v42
	v_fma_f32 v63, v74, v40, -v111
	v_mul_f32_e32 v112, v74, v41
	v_fmac_f32_e32 v106, v77, v50
	v_fma_f32 v77, v78, v44, -v107
	v_fmac_f32_e32 v104, v83, v48
	v_fma_f32 v62, v62, v42, -v113
	v_fmac_f32_e32 v112, v75, v40
	v_add_f32_e32 v75, v67, v63
	v_sub_f32_e32 v93, v76, v77
	v_sub_f32_e32 v67, v67, v63
	v_add_f32_e32 v73, v66, v62
	v_sub_f32_e32 v83, v99, v112
	v_dual_add_f32 v81, v104, v110 :: v_dual_add_f32 v78, v99, v112
	v_dual_mul_f32 v109, 0xbf248dbb, v93 :: v_dual_sub_f32 v66, v66, v62
	v_add_f32_e32 v99, v106, v108
	s_delay_alu instid0(VALU_DEP_3)
	v_dual_add_f32 v63, v81, v65 :: v_dual_add_f32 v74, v94, v114
	v_dual_fmamk_f32 v105, v73, 0x3f441b7d, v64 :: v_dual_sub_f32 v82, v94, v114
	v_dual_add_f32 v115, v75, v73 :: v_dual_sub_f32 v94, v106, v108
	v_dual_add_f32 v113, v93, v66 :: v_dual_add_f32 v98, v76, v77
	v_dual_fmamk_f32 v119, v75, 0x3f441b7d, v64 :: v_dual_sub_f32 v72, v80, v72
	v_dual_sub_f32 v80, v104, v110 :: v_dual_mul_f32 v117, 0x3f7c1c5c, v93
	v_fmamk_f32 v107, v74, 0x3f441b7d, v65
	s_wait_loadcnt 0x2
	v_dual_mul_f32 v110, 0xbf248dbb, v94 :: v_dual_mul_f32 v125, v71, v9
	s_wait_loadcnt 0x1
	v_dual_add_f32 v114, v94, v82 :: v_dual_mul_f32 v129, v87, v13
	v_dual_mul_f32 v122, v60, v1 :: v_dual_fmac_f32 v105, 0x3e31d0d4, v75
	v_dual_mul_f32 v100, 0x3f248dbb, v66 :: v_dual_mul_f32 v121, v61, v1
	v_fmamk_f32 v111, v98, 0x3f441b7d, v64
	s_wait_loadcnt 0x0
	v_dual_add_f32 v116, v78, v74 :: v_dual_mul_f32 v133, v57, v5
	v_dual_mul_f32 v124, v68, v3 :: v_dual_fmac_f32 v107, 0x3e31d0d4, v78
	v_dual_mul_f32 v126, v70, v9 :: v_dual_fmac_f32 v109, 0x3f7c1c5c, v66
	v_mul_f32_e32 v130, v86, v13
	v_dual_mul_f32 v132, v84, v15 :: v_dual_fmac_f32 v119, 0x3e31d0d4, v98
	v_dual_mul_f32 v134, v56, v5 :: v_dual_add_f32 v137, v98, v115
	v_dual_fmac_f32 v110, 0x3f7c1c5c, v82 :: v_dual_fmac_f32 v105, -0.5, v79
	v_dual_sub_f32 v114, v114, v83 :: v_dual_fmac_f32 v109, 0xbf5db3d7, v72
	v_dual_add_f32 v62, v79, v64 :: v_dual_mul_f32 v131, v85, v15
	v_dual_mul_f32 v118, 0x3f7c1c5c, v94 :: v_dual_mul_f32 v135, v91, v7
	v_dual_mul_f32 v136, v90, v7 :: v_dual_fmac_f32 v107, -0.5, v81
	v_add_f32_e32 v138, v99, v116
	v_fma_f32 v117, 0xbf248dbb, v67, -v117
	v_dual_add_f32 v115, v79, v115 :: v_dual_fmac_f32 v124, v69, v2
	v_dual_fmac_f32 v130, v87, v12 :: v_dual_fmac_f32 v105, 0xbf708fb2, v98
	v_dual_fmac_f32 v132, v85, v14 :: v_dual_fmac_f32 v107, 0xbf708fb2, v99
	v_dual_fmac_f32 v134, v57, v4 :: v_dual_mul_f32 v85, 0x3f5db3d7, v114
	v_dual_fmac_f32 v100, 0x3f7c1c5c, v67 :: v_dual_fmac_f32 v63, -0.5, v138
	v_dual_mul_f32 v104, 0x3f248dbb, v82 :: v_dual_mul_f32 v123, v69, v3
	v_dual_fmamk_f32 v112, v99, 0x3f441b7d, v65 :: v_dual_mul_f32 v127, v89, v11
	v_dual_mul_f32 v128, v88, v11 :: v_dual_fmac_f32 v111, 0x3e31d0d4, v73
	v_fma_f32 v60, v60, v0, -v121
	v_fma_f32 v57, v90, v6, -v135
	v_fmac_f32_e32 v122, v61, v0
	v_fmac_f32_e32 v100, 0x3f5db3d7, v72
	;; [unrolled: 1-line block ×4, first 2 shown]
	v_add_f32_e32 v72, v76, v115
	v_sub_f32_e32 v115, v124, v134
	v_fmac_f32_e32 v136, v91, v6
	v_dual_fmamk_f32 v120, v78, 0x3f441b7d, v65 :: v_dual_sub_f32 v113, v113, v67
	v_dual_fmac_f32 v112, 0x3e31d0d4, v74 :: v_dual_fmac_f32 v111, -0.5, v79
	v_dual_fmac_f32 v128, v89, v10 :: v_dual_add_f32 v91, v126, v132
	v_fma_f32 v71, v86, v12, -v129
	v_add_f32_e32 v86, v60, v57
	v_sub_f32_e32 v57, v60, v57
	v_dual_sub_f32 v121, v126, v132 :: v_dual_fmac_f32 v104, 0x3f7c1c5c, v83
	v_add_f32_e32 v87, v122, v136
	v_dual_add_f32 v116, v81, v116 :: v_dual_fmac_f32 v119, -0.5, v79
	v_fma_f32 v61, v68, v2, -v123
	v_fma_f32 v68, v70, v8, -v125
	;; [unrolled: 1-line block ×3, first 2 shown]
	v_dual_fmac_f32 v112, -0.5, v81 :: v_dual_fmac_f32 v109, 0x3eaf1d44, v67
	v_dual_sub_f32 v123, v128, v130 :: v_dual_fmac_f32 v120, 0x3e31d0d4, v99
	v_add_f32_e32 v89, v124, v134
	v_fmamk_f32 v99, v87, 0x3f441b7d, v59
	v_fma_f32 v56, v56, v4, -v133
	v_dual_add_f32 v76, v106, v116 :: v_dual_fmac_f32 v119, 0xbf708fb2, v73
	s_delay_alu instid0(VALU_DEP_3)
	v_dual_add_f32 v124, v70, v71 :: v_dual_fmac_f32 v99, 0x3e31d0d4, v89
	v_fmac_f32_e32 v112, 0xbf708fb2, v78
	v_fma_f32 v69, v84, v14, -v131
	v_mul_f32_e32 v84, 0x3f5db3d7, v113
	v_dual_fmac_f32 v62, -0.5, v137 :: v_dual_fmac_f32 v111, 0xbf708fb2, v75
	v_dual_add_f32 v88, v61, v56 :: v_dual_add_f32 v125, v128, v130
	v_add_f32_e32 v75, v108, v76
	v_dual_sub_f32 v56, v61, v56 :: v_dual_fmac_f32 v99, -0.5, v91
	v_dual_sub_f32 v106, v122, v136 :: v_dual_sub_f32 v61, v112, v109
	v_fmac_f32_e32 v120, -0.5, v81
	v_dual_fmac_f32 v110, 0xbf5db3d7, v80 :: v_dual_fmac_f32 v63, 0xbf5db3d7, v113
	v_fmac_f32_e32 v117, 0x3eaf1d44, v66
	s_delay_alu instid0(VALU_DEP_4)
	v_dual_mul_f32 v113, 0xbf248dbb, v123 :: v_dual_add_f32 v78, v123, v106
	v_fmac_f32_e32 v100, 0x3eaf1d44, v93
	v_mul_f32_e32 v93, 0x3f248dbb, v106
	v_dual_fmac_f32 v120, 0xbf708fb2, v74 :: v_dual_fmac_f32 v99, 0xbf708fb2, v125
	v_sub_f32_e32 v122, v70, v71
	v_fma_f32 v118, 0xbf248dbb, v83, -v118
	v_fmac_f32_e32 v104, 0x3f5db3d7, v80
	v_dual_add_f32 v72, v77, v72 :: v_dual_fmac_f32 v93, 0x3f7c1c5c, v115
	v_dual_fmac_f32 v62, 0x3f5db3d7, v114 :: v_dual_sub_f32 v73, v120, v117
	v_dual_add_f32 v90, v68, v69 :: v_dual_mul_f32 v81, 0x3f7c1c5c, v122
	v_dual_add_f32 v74, v122, v57 :: v_dual_fmac_f32 v113, 0x3f7c1c5c, v106
	v_dual_fmac_f32 v118, 0x3f5db3d7, v80 :: v_dual_add_f32 v79, v88, v86
	v_dual_add_f32 v80, v89, v87 :: v_dual_add_f32 v65, v75, v65
	v_fmac_f32_e32 v93, 0x3f5db3d7, v121
	v_fma_f32 v76, -2.0, v85, v62
	v_fmac_f32_e32 v113, 0xbf5db3d7, v121
	v_dual_sub_f32 v85, v78, v115 :: v_dual_sub_f32 v116, v68, v69
	v_sub_f32_e32 v67, v107, v100
	v_dual_add_f32 v69, v59, v91 :: v_dual_fmac_f32 v104, 0x3eaf1d44, v94
	v_fma_f32 v107, 0xbf248dbb, v56, -v81
	v_fmac_f32_e32 v110, 0x3eaf1d44, v83
	v_dual_add_f32 v68, v58, v90 :: v_dual_add_f32 v83, v124, v79
	s_delay_alu instid0(VALU_DEP_4) | instskip(SKIP_4) | instid1(VALU_DEP_4)
	v_dual_add_f32 v66, v104, v105 :: v_dual_fmac_f32 v93, 0x3eaf1d44, v123
	v_dual_add_f32 v105, v125, v80 :: v_dual_fmac_f32 v118, 0x3eaf1d44, v82
	v_mul_f32_e32 v82, 0x3f7c1c5c, v123
	v_fmac_f32_e32 v107, 0x3f5db3d7, v116
	v_fma_f32 v77, 2.0, v84, v63
	v_dual_sub_f32 v84, v74, v56 :: v_dual_fmac_f32 v69, -0.5, v105
	v_fmamk_f32 v114, v124, 0x3f441b7d, v58
	s_delay_alu instid0(VALU_DEP_4) | instskip(SKIP_1) | instid1(VALU_DEP_4)
	v_dual_fmac_f32 v107, 0x3eaf1d44, v57 :: v_dual_add_f32 v60, v110, v111
	v_fma_f32 v111, 0xbf248dbb, v115, -v82
	v_dual_fmac_f32 v69, 0xbf5db3d7, v84 :: v_dual_fmac_f32 v68, -0.5, v83
	v_dual_add_f32 v64, v72, v64 :: v_dual_fmac_f32 v113, 0x3eaf1d44, v115
	s_delay_alu instid0(VALU_DEP_3) | instskip(SKIP_3) | instid1(VALU_DEP_4)
	v_dual_fmac_f32 v111, 0x3f5db3d7, v121 :: v_dual_add_f32 v82, v90, v79
	v_add_f32_e32 v112, v91, v80
	v_fma_f32 v80, -2.0, v104, v66
	v_fma_f32 v81, 2.0, v100, v67
	v_fmac_f32_e32 v111, 0x3eaf1d44, v106
	v_add_f32_e32 v70, v70, v82
	v_add_f32_e32 v82, v128, v112
	v_mul_f32_e32 v94, 0x3f248dbb, v57
	v_mul_f32_e32 v100, 0x3f5db3d7, v84
	;; [unrolled: 1-line block ×3, first 2 shown]
	v_add_f32_e32 v70, v71, v70
	s_delay_alu instid0(VALU_DEP_4) | instskip(SKIP_2) | instid1(VALU_DEP_3)
	v_dual_add_f32 v71, v130, v82 :: v_dual_fmac_f32 v94, 0x3f7c1c5c, v56
	v_fmamk_f32 v98, v86, 0x3f441b7d, v58
	v_fmac_f32_e32 v68, 0x3f5db3d7, v85
	v_dual_add_f32 v82, v58, v70 :: v_dual_add_f32 v83, v59, v71
	s_delay_alu instid0(VALU_DEP_4)
	v_fmac_f32_e32 v94, 0x3f5db3d7, v116
	v_fmac_f32_e32 v58, 0x3f441b7d, v88
	v_fmac_f32_e32 v98, 0x3e31d0d4, v88
	v_fma_f32 v78, -2.0, v110, v60
	v_fma_f32 v79, 2.0, v109, v61
	v_fmac_f32_e32 v94, 0x3eaf1d44, v122
	v_fmamk_f32 v126, v125, 0x3f441b7d, v59
	v_dual_fmac_f32 v59, 0x3f441b7d, v89 :: v_dual_add_f32 v72, v118, v119
	v_fmac_f32_e32 v114, 0x3e31d0d4, v86
	v_fmac_f32_e32 v58, 0x3e31d0d4, v124
	s_delay_alu instid0(VALU_DEP_3) | instskip(SKIP_3) | instid1(VALU_DEP_4)
	v_dual_fmac_f32 v126, 0x3e31d0d4, v87 :: v_dual_fmac_f32 v59, 0x3e31d0d4, v125
	v_mul_f32_e32 v108, 0xbf248dbb, v122
	v_fmac_f32_e32 v98, -0.5, v90
	v_fmac_f32_e32 v114, -0.5, v90
	;; [unrolled: 1-line block ×3, first 2 shown]
	s_delay_alu instid0(VALU_DEP_4)
	v_dual_fmac_f32 v59, -0.5, v91 :: v_dual_fmac_f32 v108, 0x3f7c1c5c, v57
	v_fmac_f32_e32 v58, -0.5, v90
	v_fmac_f32_e32 v98, 0xbf708fb2, v124
	v_fmac_f32_e32 v114, 0xbf708fb2, v88
	v_fmac_f32_e32 v126, 0xbf708fb2, v89
	v_fmac_f32_e32 v108, 0xbf5db3d7, v116
	v_dual_fmac_f32 v58, 0xbf708fb2, v86 :: v_dual_fmac_f32 v59, 0xbf708fb2, v87
	v_add_f32_e32 v88, v93, v98
	s_delay_alu instid0(VALU_DEP_3) | instskip(SKIP_1) | instid1(VALU_DEP_4)
	v_dual_sub_f32 v89, v99, v94 :: v_dual_fmac_f32 v108, 0x3eaf1d44, v56
	v_add_f32_e32 v90, v113, v114
	v_add_f32_e32 v70, v111, v58
	v_sub_f32_e32 v71, v59, v107
	v_fma_f32 v74, -2.0, v118, v72
	v_sub_f32_e32 v91, v126, v108
	v_fma_f32 v75, 2.0, v117, v73
	v_fma_f32 v86, -2.0, v104, v68
	v_fma_f32 v87, 2.0, v100, v69
	v_fma_f32 v93, -2.0, v93, v88
	;; [unrolled: 2-line block ×4, first 2 shown]
	v_fma_f32 v85, 2.0, v107, v71
	ds_store_2addr_b64 v101, v[64:65], v[66:67] offset1:221
	ds_store_2addr_b64 v97, v[60:61], v[62:63] offset0:26 offset1:247
	ds_store_2addr_b64 v96, v[72:73], v[74:75] offset0:20 offset1:241
	ds_store_2addr_b64 v95, v[76:77], v[78:79] offset0:14 offset1:235
	ds_store_b64 v101, v[80:81] offset:14144
	s_and_saveexec_b32 s1, s0
	s_cbranch_execz .LBB0_11
; %bb.10:
	v_add_nc_u32_e32 v56, 0x400, v101
	v_add_nc_u32_e32 v57, 0x1200, v101
	;; [unrolled: 1-line block ×4, first 2 shown]
	ds_store_2addr_b64 v56, v[82:83], v[88:89] offset0:25 offset1:246
	ds_store_2addr_b64 v57, v[90:91], v[68:69] offset0:19 offset1:240
	;; [unrolled: 1-line block ×4, first 2 shown]
	ds_store_b64 v101, v[93:94] offset:15368
.LBB0_11:
	s_wait_alu 0xfffe
	s_or_b32 exec_lo, exec_lo, s1
	global_wb scope:SCOPE_SE
	s_wait_dscnt 0x0
	s_barrier_signal -1
	s_barrier_wait -1
	global_inv scope:SCOPE_SE
	s_and_saveexec_b32 s1, vcc_lo
	s_cbranch_execz .LBB0_13
; %bb.12:
	global_load_b64 v[56:57], v101, s[8:9] offset:15912
	s_add_nc_u64 s[2:3], s[8:9], 0x3e28
	s_clause 0xf
	global_load_b64 v[128:129], v101, s[2:3] offset:936
	global_load_b64 v[130:131], v101, s[2:3] offset:1872
	;; [unrolled: 1-line block ×16, first 2 shown]
	ds_load_b64 v[58:59], v101
	v_add_nc_u32_e32 v163, 0x1800, v101
	v_add_nc_u32_e32 v165, 0x2800, v101
	;; [unrolled: 1-line block ×4, first 2 shown]
	s_wait_loadcnt_dscnt 0x1000
	v_mul_f32_e32 v95, v59, v57
	v_mul_f32_e32 v96, v58, v57
	s_delay_alu instid0(VALU_DEP_2) | instskip(NEXT) | instid1(VALU_DEP_2)
	v_fma_f32 v95, v58, v56, -v95
	v_fmac_f32_e32 v96, v59, v56
	ds_store_b64 v101, v[95:96]
	ds_load_2addr_b64 v[56:59], v101 offset0:117 offset1:234
	ds_load_2addr_b64 v[95:98], v161 offset0:95 offset1:212
	v_add_nc_u32_e32 v162, 0x1000, v101
	v_add_nc_u32_e32 v164, 0x2000, v101
	;; [unrolled: 1-line block ×3, first 2 shown]
	ds_load_2addr_b64 v[108:111], v163 offset0:51 offset1:168
	s_wait_loadcnt_dscnt 0xf02
	v_mul_f32_e32 v168, v57, v129
	s_wait_loadcnt 0xe
	v_dual_mul_f32 v160, v56, v129 :: v_dual_mul_f32 v129, v58, v131
	ds_load_2addr_b64 v[104:107], v162 offset0:73 offset1:190
	s_wait_loadcnt_dscnt 0xd02
	v_dual_mul_f32 v169, v59, v131 :: v_dual_mul_f32 v170, v96, v133
	s_wait_loadcnt_dscnt 0x801
	v_mul_f32_e32 v175, v111, v143
	v_mul_f32_e32 v131, v95, v133
	;; [unrolled: 1-line block ×4, first 2 shown]
	ds_load_2addr_b64 v[112:115], v164 offset0:29 offset1:146
	ds_load_2addr_b64 v[116:119], v165 offset0:7 offset1:124
	;; [unrolled: 1-line block ×4, first 2 shown]
	v_dual_mul_f32 v174, v109, v141 :: v_dual_fmac_f32 v129, v59, v130
	v_fmac_f32_e32 v131, v96, v132
	s_wait_dscnt 0x4
	v_dual_fmac_f32 v133, v98, v134 :: v_dual_mul_f32 v172, v105, v137
	v_mul_f32_e32 v135, v104, v137
	v_mul_f32_e32 v173, v107, v139
	v_mul_f32_e32 v137, v106, v139
	v_mul_f32_e32 v139, v108, v141
	s_wait_loadcnt_dscnt 0x703
	v_dual_mul_f32 v141, v110, v143 :: v_dual_mul_f32 v176, v113, v145
	v_mul_f32_e32 v143, v112, v145
	s_wait_loadcnt 0x6
	v_mul_f32_e32 v145, v114, v147
	s_wait_loadcnt_dscnt 0x502
	v_dual_mul_f32 v177, v115, v147 :: v_dual_mul_f32 v178, v117, v149
	s_wait_loadcnt 0x4
	v_mul_f32_e32 v179, v119, v151
	v_mul_f32_e32 v147, v116, v149
	s_wait_loadcnt_dscnt 0x301
	v_dual_mul_f32 v149, v118, v151 :: v_dual_mul_f32 v180, v121, v153
	v_mul_f32_e32 v151, v120, v153
	s_wait_loadcnt_dscnt 0x100
	v_dual_mul_f32 v181, v123, v155 :: v_dual_mul_f32 v182, v125, v157
	v_mul_f32_e32 v153, v122, v155
	v_mul_f32_e32 v155, v124, v157
	s_wait_loadcnt 0x0
	v_mul_f32_e32 v183, v127, v159
	v_mul_f32_e32 v157, v126, v159
	v_fma_f32 v159, v56, v128, -v168
	v_fmac_f32_e32 v160, v57, v128
	v_fma_f32 v128, v58, v130, -v169
	v_fma_f32 v130, v95, v132, -v170
	;; [unrolled: 1-line block ×4, first 2 shown]
	v_fmac_f32_e32 v135, v105, v136
	v_fma_f32 v136, v106, v138, -v173
	v_fmac_f32_e32 v137, v107, v138
	v_fma_f32 v138, v108, v140, -v174
	;; [unrolled: 2-line block ×11, first 2 shown]
	v_fmac_f32_e32 v157, v127, v158
	ds_store_2addr_b64 v101, v[159:160], v[128:129] offset0:117 offset1:234
	ds_store_2addr_b64 v161, v[130:131], v[132:133] offset0:95 offset1:212
	;; [unrolled: 1-line block ×8, first 2 shown]
.LBB0_13:
	s_wait_alu 0xfffe
	s_or_b32 exec_lo, exec_lo, s1
	global_wb scope:SCOPE_SE
	s_wait_dscnt 0x0
	s_barrier_signal -1
	s_barrier_wait -1
	global_inv scope:SCOPE_SE
	s_and_saveexec_b32 s1, vcc_lo
	s_cbranch_execz .LBB0_15
; %bb.14:
	v_add_nc_u32_e32 v56, 0x400, v101
	v_add_nc_u32_e32 v57, 0xc00, v101
	;; [unrolled: 1-line block ×3, first 2 shown]
	ds_load_2addr_b64 v[64:67], v101 offset1:117
	v_add_nc_u32_e32 v59, 0x2800, v101
	ds_load_2addr_b64 v[60:63], v56 offset0:106 offset1:223
	ds_load_2addr_b64 v[72:75], v57 offset0:84 offset1:201
	v_add_nc_u32_e32 v56, 0x1c00, v101
	v_add_nc_u32_e32 v57, 0x2400, v101
	;; [unrolled: 1-line block ×3, first 2 shown]
	ds_load_2addr_b64 v[76:79], v58 offset0:62 offset1:179
	ds_load_2addr_b64 v[80:83], v56 offset0:40 offset1:157
	;; [unrolled: 1-line block ×5, first 2 shown]
	ds_load_b64 v[99:100], v101 offset:14976
.LBB0_15:
	s_wait_alu 0xfffe
	s_or_b32 exec_lo, exec_lo, s1
	s_wait_dscnt 0x0
	v_dual_sub_f32 v150, v67, v100 :: v_dual_add_f32 v159, v100, v67
	v_add_f32_e32 v146, v99, v66
	v_sub_f32_e32 v154, v66, v99
	s_delay_alu instid0(VALU_DEP_3) | instskip(NEXT) | instid1(VALU_DEP_4)
	v_dual_add_f32 v104, v87, v61 :: v_dual_mul_f32 v157, 0xbf2c7751, v150
	v_mul_f32_e32 v156, 0x3f6eb680, v159
	v_mul_f32_e32 v148, 0xbeb8f4ab, v150
	v_dual_mul_f32 v160, 0x3f3d2fb0, v159 :: v_dual_sub_f32 v109, v60, v86
	v_mul_f32_e32 v163, 0x3ee437d1, v159
	s_delay_alu instid0(VALU_DEP_4) | instskip(NEXT) | instid1(VALU_DEP_4)
	v_fmamk_f32 v57, v154, 0xbeb8f4ab, v156
	v_fma_f32 v56, 0x3f6eb680, v146, -v148
	v_mul_f32_e32 v168, 0xbf7ee86f, v150
	v_dual_sub_f32 v108, v61, v87 :: v_dual_mul_f32 v153, 0x3f3d2fb0, v104
	v_fma_f32 v58, 0x3f3d2fb0, v146, -v157
	s_delay_alu instid0(VALU_DEP_4)
	v_dual_fmamk_f32 v59, v154, 0xbf2c7751, v160 :: v_dual_add_f32 v56, v64, v56
	v_mul_f32_e32 v162, 0xbf65296c, v150
	v_fma_f32 v97, 0x3dbcf732, v146, -v168
	v_dual_add_f32 v106, v86, v60 :: v_dual_fmamk_f32 v107, v109, 0xbf2c7751, v153
	v_dual_mul_f32 v151, 0xbf2c7751, v108 :: v_dual_add_f32 v58, v64, v58
	v_mul_f32_e32 v173, 0x3dbcf732, v159
	v_add_f32_e32 v59, v65, v59
	v_fma_f32 v95, 0x3ee437d1, v146, -v162
	s_delay_alu instid0(VALU_DEP_4) | instskip(SKIP_1) | instid1(VALU_DEP_3)
	v_fma_f32 v105, 0x3f3d2fb0, v106, -v151
	v_dual_add_f32 v97, v64, v97 :: v_dual_mul_f32 v138, 0x3dbcf732, v104
	v_dual_fmamk_f32 v96, v154, 0xbf65296c, v163 :: v_dual_add_f32 v95, v64, v95
	v_fmamk_f32 v98, v154, 0xbf7ee86f, v173
	s_delay_alu instid0(VALU_DEP_4) | instskip(NEXT) | instid1(VALU_DEP_4)
	v_add_f32_e32 v56, v105, v56
	v_fmamk_f32 v105, v109, 0xbf7ee86f, v138
	v_dual_mul_f32 v127, 0xbe3c28d5, v108 :: v_dual_sub_f32 v112, v63, v85
	v_dual_add_f32 v57, v65, v57 :: v_dual_mul_f32 v136, 0xbf7ee86f, v108
	s_delay_alu instid0(VALU_DEP_3) | instskip(SKIP_1) | instid1(VALU_DEP_4)
	v_add_f32_e32 v59, v105, v59
	v_dual_add_f32 v98, v65, v98 :: v_dual_mul_f32 v143, 0xbf4c4adb, v108
	v_fma_f32 v105, 0xbf7ba420, v106, -v127
	s_delay_alu instid0(VALU_DEP_4) | instskip(SKIP_1) | instid1(VALU_DEP_4)
	v_dual_add_f32 v96, v65, v96 :: v_dual_add_f32 v57, v107, v57
	v_fma_f32 v110, 0x3dbcf732, v106, -v136
	v_fma_f32 v107, 0xbf1a4643, v106, -v143
	s_delay_alu instid0(VALU_DEP_4) | instskip(NEXT) | instid1(VALU_DEP_3)
	v_dual_mul_f32 v128, 0xbf7ba420, v104 :: v_dual_add_f32 v97, v105, v97
	v_dual_add_f32 v105, v85, v63 :: v_dual_add_f32 v58, v110, v58
	v_mul_f32_e32 v145, 0xbf1a4643, v104
	s_delay_alu instid0(VALU_DEP_4) | instskip(NEXT) | instid1(VALU_DEP_3)
	v_dual_add_f32 v95, v107, v95 :: v_dual_sub_f32 v114, v62, v84
	v_mul_f32_e32 v142, 0xbf1a4643, v105
	v_mul_f32_e32 v167, 0xbf65296c, v112
	s_delay_alu instid0(VALU_DEP_4) | instskip(SKIP_3) | instid1(VALU_DEP_4)
	v_fmamk_f32 v110, v109, 0xbf4c4adb, v145
	v_mul_f32_e32 v169, 0x3ee437d1, v105
	v_dual_mul_f32 v161, 0xbf7ba420, v105 :: v_dual_sub_f32 v116, v73, v71
	v_fmamk_f32 v115, v114, 0xbf4c4adb, v142
	v_dual_fmamk_f32 v107, v109, 0xbe3c28d5, v128 :: v_dual_add_f32 v96, v110, v96
	v_add_f32_e32 v110, v84, v62
	s_delay_alu instid0(VALU_DEP_3) | instskip(NEXT) | instid1(VALU_DEP_3)
	v_dual_mul_f32 v140, 0xbf4c4adb, v112 :: v_dual_add_f32 v59, v115, v59
	v_add_f32_e32 v98, v107, v98
	v_mul_f32_e32 v134, 0xbe8c1d8e, v105
	s_delay_alu instid0(VALU_DEP_4) | instskip(NEXT) | instid1(VALU_DEP_4)
	v_fma_f32 v107, 0x3ee437d1, v110, -v167
	v_fma_f32 v113, 0xbf1a4643, v110, -v140
	v_mul_f32_e32 v149, 0x3e3c28d5, v112
	v_fmamk_f32 v111, v114, 0xbf65296c, v169
	v_dual_mul_f32 v177, 0xbf7ee86f, v116 :: v_dual_sub_f32 v118, v72, v70
	v_add_f32_e32 v56, v107, v56
	v_add_f32_e32 v58, v113, v58
	v_fma_f32 v107, 0xbf7ba420, v110, -v149
	v_add_f32_e32 v57, v111, v57
	v_add_f32_e32 v113, v70, v72
	v_dual_mul_f32 v132, 0x3f763a35, v112 :: v_dual_fmamk_f32 v115, v114, 0x3f763a35, v134
	s_delay_alu instid0(VALU_DEP_4) | instskip(SKIP_1) | instid1(VALU_DEP_4)
	v_add_f32_e32 v95, v107, v95
	v_fmamk_f32 v107, v114, 0x3e3c28d5, v161
	v_fma_f32 v117, 0x3dbcf732, v113, -v177
	s_delay_alu instid0(VALU_DEP_4)
	v_fma_f32 v111, 0xbe8c1d8e, v110, -v132
	v_add_f32_e32 v98, v115, v98
	v_sub_f32_e32 v120, v75, v69
	v_add_f32_e32 v96, v107, v96
	v_dual_add_f32 v107, v71, v73 :: v_dual_add_f32 v56, v117, v56
	v_add_f32_e32 v97, v111, v97
	v_mul_f32_e32 v147, 0xbe3c28d5, v116
	v_dual_mul_f32 v183, 0xbf763a35, v120 :: v_dual_sub_f32 v124, v77, v91
	s_delay_alu instid0(VALU_DEP_4)
	v_mul_f32_e32 v180, 0x3dbcf732, v107
	v_mul_f32_e32 v155, 0xbf7ba420, v107
	;; [unrolled: 1-line block ×4, first 2 shown]
	v_fma_f32 v115, 0xbf7ba420, v113, -v147
	v_fmamk_f32 v111, v118, 0xbf7ee86f, v180
	v_mul_f32_e32 v166, 0x3f763a35, v116
	v_fmamk_f32 v117, v118, 0xbe3c28d5, v155
	v_mul_f32_e32 v164, 0x3f06c442, v120
	v_add_f32_e32 v58, v115, v58
	v_add_f32_e32 v57, v111, v57
	v_fma_f32 v119, 0xbe8c1d8e, v113, -v166
	v_add_f32_e32 v59, v117, v59
	v_dual_add_f32 v117, v68, v74 :: v_dual_mul_f32 v178, 0x3f2c7751, v120
	v_mul_f32_e32 v189, 0xbf4c4adb, v124
	v_mul_f32_e32 v184, 0xbeb8f4ab, v124
	global_wb scope:SCOPE_SE
	v_fma_f32 v122, 0xbe8c1d8e, v117, -v183
	v_add_f32_e32 v95, v119, v95
	v_fmamk_f32 v119, v118, 0x3eb8f4ab, v139
	v_fmamk_f32 v111, v118, 0x3f763a35, v172
	s_barrier_signal -1
	v_add_f32_e32 v56, v122, v56
	s_barrier_wait -1
	v_add_f32_e32 v98, v119, v98
	v_fma_f32 v119, 0xbf59a7d5, v117, -v164
	v_mul_f32_e32 v137, 0x3eb8f4ab, v116
	v_dual_add_f32 v96, v111, v96 :: v_dual_add_f32 v111, v69, v75
	s_delay_alu instid0(VALU_DEP_3) | instskip(NEXT) | instid1(VALU_DEP_3)
	v_dual_sub_f32 v121, v74, v68 :: v_dual_add_f32 v58, v119, v58
	v_fma_f32 v115, 0x3f6eb680, v113, -v137
	v_fma_f32 v119, 0x3f3d2fb0, v117, -v178
	s_delay_alu instid0(VALU_DEP_4) | instskip(SKIP_4) | instid1(VALU_DEP_3)
	v_mul_f32_e32 v186, 0xbe8c1d8e, v111
	v_mul_f32_e32 v170, 0xbf59a7d5, v111
	;; [unrolled: 1-line block ×3, first 2 shown]
	v_dual_add_f32 v97, v115, v97 :: v_dual_mul_f32 v144, 0x3ee437d1, v111
	v_dual_add_f32 v95, v119, v95 :: v_dual_mul_f32 v174, 0x3f763a35, v124
	v_fmamk_f32 v122, v121, 0x3f2c7751, v181
	global_inv scope:SCOPE_SE
	v_fmamk_f32 v119, v121, 0xbf65296c, v144
	v_fmamk_f32 v115, v121, 0xbf763a35, v186
	v_mul_f32_e32 v152, 0xbf06c442, v124
	v_add_f32_e32 v96, v122, v96
	v_add_f32_e32 v122, v90, v76
	;; [unrolled: 1-line block ×4, first 2 shown]
	s_delay_alu instid0(VALU_DEP_3) | instskip(SKIP_3) | instid1(VALU_DEP_4)
	v_fma_f32 v119, 0xbf1a4643, v122, -v189
	v_fmamk_f32 v115, v121, 0x3f06c442, v170
	v_fma_f32 v126, 0xbe8c1d8e, v122, -v174
	v_mul_f32_e32 v141, 0xbf65296c, v120
	v_add_f32_e32 v56, v119, v56
	s_delay_alu instid0(VALU_DEP_3) | instskip(NEXT) | instid1(VALU_DEP_3)
	v_dual_add_f32 v59, v115, v59 :: v_dual_add_f32 v58, v126, v58
	v_fma_f32 v115, 0x3ee437d1, v117, -v141
	v_fma_f32 v119, 0x3f6eb680, v122, -v184
	s_delay_alu instid0(VALU_DEP_2) | instskip(SKIP_1) | instid1(VALU_DEP_1)
	v_dual_add_f32 v126, v88, v78 :: v_dual_add_f32 v97, v115, v97
	v_add_f32_e32 v115, v91, v77
	v_dual_sub_f32 v125, v76, v90 :: v_dual_mul_f32 v192, 0xbf1a4643, v115
	v_mul_f32_e32 v158, 0xbf59a7d5, v115
	v_add_f32_e32 v95, v119, v95
	s_delay_alu instid0(VALU_DEP_3) | instskip(NEXT) | instid1(VALU_DEP_3)
	v_fmamk_f32 v123, v125, 0xbf4c4adb, v192
	v_fmamk_f32 v130, v125, 0xbf06c442, v158
	s_delay_alu instid0(VALU_DEP_1) | instskip(SKIP_1) | instid1(VALU_DEP_1)
	v_add_f32_e32 v98, v130, v98
	v_dual_sub_f32 v130, v78, v88 :: v_dual_mul_f32 v187, 0x3f6eb680, v115
	v_fmamk_f32 v119, v125, 0xbeb8f4ab, v187
	s_delay_alu instid0(VALU_DEP_1) | instskip(NEXT) | instid1(VALU_DEP_1)
	v_dual_mul_f32 v179, 0xbe8c1d8e, v115 :: v_dual_add_f32 v96, v119, v96
	v_fmamk_f32 v129, v125, 0x3f763a35, v179
	s_delay_alu instid0(VALU_DEP_1) | instskip(SKIP_1) | instid1(VALU_DEP_1)
	v_add_f32_e32 v59, v129, v59
	v_sub_f32_e32 v129, v79, v89
	v_dual_add_f32 v119, v89, v79 :: v_dual_mul_f32 v182, 0x3f65296c, v129
	v_mul_f32_e32 v194, 0xbf06c442, v129
	s_delay_alu instid0(VALU_DEP_2) | instskip(SKIP_2) | instid1(VALU_DEP_4)
	v_mul_f32_e32 v185, 0x3ee437d1, v119
	v_mul_f32_e32 v193, 0x3dbcf732, v119
	;; [unrolled: 1-line block ×3, first 2 shown]
	v_fma_f32 v131, 0xbf59a7d5, v126, -v194
	s_delay_alu instid0(VALU_DEP_4) | instskip(NEXT) | instid1(VALU_DEP_4)
	v_fmamk_f32 v133, v130, 0x3f65296c, v185
	v_fmamk_f32 v165, v130, 0xbf7ee86f, v193
	v_add_f32_e32 v57, v123, v57
	v_fma_f32 v123, 0xbf59a7d5, v122, -v152
	v_add_f32_e32 v56, v131, v56
	v_fma_f32 v131, 0x3ee437d1, v126, -v182
	v_add_f32_e32 v96, v165, v96
	v_add_f32_e32 v200, v133, v59
	v_sub_f32_e32 v133, v81, v83
	v_mul_f32_e32 v165, 0x3f4c4adb, v129
	v_add_f32_e32 v175, v131, v58
	v_add_f32_e32 v131, v82, v80
	;; [unrolled: 1-line block ×3, first 2 shown]
	v_mul_f32_e32 v198, 0xbe3c28d5, v133
	v_fma_f32 v58, 0xbf1a4643, v126, -v165
	v_mul_f32_e32 v197, 0xbf59a7d5, v119
	v_fmamk_f32 v59, v130, 0x3f4c4adb, v171
	s_delay_alu instid0(VALU_DEP_4) | instskip(NEXT) | instid1(VALU_DEP_2)
	v_fma_f32 v176, 0xbf7ba420, v131, -v198
	v_dual_add_f32 v97, v58, v97 :: v_dual_add_f32 v98, v59, v98
	s_delay_alu instid0(VALU_DEP_2) | instskip(SKIP_1) | instid1(VALU_DEP_1)
	v_add_f32_e32 v58, v176, v56
	v_mul_f32_e32 v190, 0xbf7ee86f, v129
	v_fma_f32 v135, 0x3dbcf732, v126, -v190
	s_delay_alu instid0(VALU_DEP_1) | instskip(SKIP_2) | instid1(VALU_DEP_1)
	v_add_f32_e32 v95, v135, v95
	v_sub_f32_e32 v135, v80, v82
	v_fmamk_f32 v123, v130, 0xbf06c442, v197
	v_add_f32_e32 v57, v123, v57
	v_add_f32_e32 v123, v83, v81
	s_delay_alu instid0(VALU_DEP_1) | instskip(SKIP_2) | instid1(VALU_DEP_3)
	v_mul_f32_e32 v196, 0xbf59a7d5, v123
	v_mul_f32_e32 v176, 0x3f3d2fb0, v123
	;; [unrolled: 1-line block ×3, first 2 shown]
	v_fmamk_f32 v202, v135, 0xbf06c442, v196
	s_delay_alu instid0(VALU_DEP_3) | instskip(SKIP_1) | instid1(VALU_DEP_3)
	v_fmamk_f32 v204, v135, 0x3f2c7751, v176
	v_mul_f32_e32 v188, 0x3eb8f4ab, v133
	v_dual_fmamk_f32 v191, v135, 0xbe3c28d5, v199 :: v_dual_add_f32 v96, v202, v96
	s_delay_alu instid0(VALU_DEP_3) | instskip(NEXT) | instid1(VALU_DEP_3)
	v_add_f32_e32 v98, v204, v98
	v_fma_f32 v195, 0x3f6eb680, v131, -v188
	s_delay_alu instid0(VALU_DEP_3) | instskip(SKIP_1) | instid1(VALU_DEP_3)
	v_add_f32_e32 v59, v191, v57
	v_mul_f32_e32 v191, 0x3f6eb680, v123
	v_dual_add_f32 v56, v195, v175 :: v_dual_mul_f32 v195, 0xbf06c442, v133
	v_mul_f32_e32 v175, 0x3f2c7751, v133
	s_delay_alu instid0(VALU_DEP_3) | instskip(NEXT) | instid1(VALU_DEP_3)
	v_fmamk_f32 v57, v135, 0x3eb8f4ab, v191
	v_fma_f32 v201, 0xbf59a7d5, v131, -v195
	s_delay_alu instid0(VALU_DEP_3) | instskip(NEXT) | instid1(VALU_DEP_3)
	v_fma_f32 v203, 0x3f3d2fb0, v131, -v175
	v_add_f32_e32 v57, v57, v200
	s_delay_alu instid0(VALU_DEP_3) | instskip(NEXT) | instid1(VALU_DEP_3)
	v_add_f32_e32 v95, v201, v95
	v_add_f32_e32 v97, v203, v97
	s_and_saveexec_b32 s1, vcc_lo
	s_cbranch_execz .LBB0_17
; %bb.16:
	v_dual_add_f32 v67, v67, v65 :: v_dual_add_f32 v66, v66, v64
	s_delay_alu instid0(VALU_DEP_1) | instskip(NEXT) | instid1(VALU_DEP_1)
	v_dual_add_f32 v61, v61, v67 :: v_dual_add_f32 v60, v60, v66
	v_dual_add_f32 v61, v63, v61 :: v_dual_add_f32 v60, v62, v60
	s_delay_alu instid0(VALU_DEP_1) | instskip(SKIP_1) | instid1(VALU_DEP_2)
	v_dual_add_f32 v61, v73, v61 :: v_dual_add_f32 v60, v72, v60
	v_mul_f32_e32 v73, 0x3dbcf732, v146
	v_dual_mul_f32 v62, 0xbf06c442, v154 :: v_dual_add_f32 v61, v75, v61
	s_delay_alu instid0(VALU_DEP_3) | instskip(NEXT) | instid1(VALU_DEP_3)
	v_add_f32_e32 v60, v74, v60
	v_add_f32_e32 v73, v73, v168
	s_delay_alu instid0(VALU_DEP_2) | instskip(NEXT) | instid1(VALU_DEP_2)
	v_dual_add_f32 v61, v77, v61 :: v_dual_add_f32 v60, v76, v60
	v_dual_mul_f32 v76, 0xbf2c7751, v154 :: v_dual_add_f32 v73, v64, v73
	s_delay_alu instid0(VALU_DEP_2) | instskip(NEXT) | instid1(VALU_DEP_2)
	v_dual_add_f32 v61, v79, v61 :: v_dual_add_f32 v60, v78, v60
	v_dual_mul_f32 v79, 0xbf06c442, v150 :: v_dual_sub_f32 v76, v160, v76
	s_delay_alu instid0(VALU_DEP_2) | instskip(SKIP_1) | instid1(VALU_DEP_2)
	v_dual_add_f32 v61, v81, v61 :: v_dual_add_f32 v60, v80, v60
	v_mul_f32_e32 v81, 0xbf763a35, v150
	v_dual_add_f32 v61, v83, v61 :: v_dual_add_f32 v60, v82, v60
	s_delay_alu instid0(VALU_DEP_4) | instskip(NEXT) | instid1(VALU_DEP_2)
	v_fma_f32 v83, 0xbf59a7d5, v146, -v79
	v_dual_mul_f32 v82, 0xbf4c4adb, v150 :: v_dual_add_f32 v61, v89, v61
	s_delay_alu instid0(VALU_DEP_3) | instskip(NEXT) | instid1(VALU_DEP_3)
	v_add_f32_e32 v60, v88, v60
	v_add_f32_e32 v83, v64, v83
	s_delay_alu instid0(VALU_DEP_2) | instskip(NEXT) | instid1(VALU_DEP_1)
	v_dual_add_f32 v61, v91, v61 :: v_dual_add_f32 v60, v90, v60
	v_dual_add_f32 v61, v69, v61 :: v_dual_add_f32 v60, v68, v60
	s_delay_alu instid0(VALU_DEP_1) | instskip(NEXT) | instid1(VALU_DEP_1)
	v_dual_add_f32 v61, v71, v61 :: v_dual_add_f32 v60, v70, v60
	v_dual_mul_f32 v70, 0xbf763a35, v154 :: v_dual_add_f32 v61, v85, v61
	s_delay_alu instid0(VALU_DEP_2) | instskip(SKIP_1) | instid1(VALU_DEP_3)
	v_add_f32_e32 v60, v84, v60
	v_fma_f32 v85, 0xbf1a4643, v146, -v82
	v_dual_mul_f32 v74, 0xbf65296c, v154 :: v_dual_add_f32 v61, v87, v61
	s_delay_alu instid0(VALU_DEP_3) | instskip(SKIP_1) | instid1(VALU_DEP_4)
	v_dual_add_f32 v60, v86, v60 :: v_dual_fmac_f32 v79, 0xbf59a7d5, v146
	v_mul_f32_e32 v87, 0x3f6eb680, v146
	v_dual_mul_f32 v68, 0xbf4c4adb, v154 :: v_dual_add_f32 v85, v64, v85
	s_delay_alu instid0(VALU_DEP_3) | instskip(NEXT) | instid1(VALU_DEP_4)
	v_add_f32_e32 v60, v99, v60
	v_dual_mul_f32 v78, 0xbeb8f4ab, v154 :: v_dual_add_f32 v79, v64, v79
	s_delay_alu instid0(VALU_DEP_4) | instskip(NEXT) | instid1(VALU_DEP_4)
	v_add_f32_e32 v87, v87, v148
	v_fmamk_f32 v69, v159, 0xbf1a4643, v68
	v_fma_f32 v68, 0xbf1a4643, v159, -v68
	s_delay_alu instid0(VALU_DEP_4) | instskip(SKIP_4) | instid1(VALU_DEP_4)
	v_sub_f32_e32 v78, v156, v78
	v_mul_f32_e32 v77, 0x3f3d2fb0, v146
	v_sub_f32_e32 v74, v163, v74
	v_dual_mul_f32 v72, 0xbf7ee86f, v154 :: v_dual_add_f32 v69, v65, v69
	v_add_f32_e32 v68, v65, v68
	v_dual_mul_f32 v66, 0xbe3c28d5, v154 :: v_dual_add_f32 v77, v77, v157
	s_delay_alu instid0(VALU_DEP_3) | instskip(SKIP_1) | instid1(VALU_DEP_3)
	v_dual_fmamk_f32 v63, v159, 0xbf59a7d5, v62 :: v_dual_sub_f32 v72, v173, v72
	v_fma_f32 v62, 0xbf59a7d5, v159, -v62
	v_fmamk_f32 v67, v159, 0xbf7ba420, v66
	v_fma_f32 v66, 0xbf7ba420, v159, -v66
	v_fmac_f32_e32 v82, 0xbf1a4643, v146
	v_add_f32_e32 v88, v65, v63
	v_dual_add_f32 v90, v65, v62 :: v_dual_add_f32 v63, v64, v87
	s_delay_alu instid0(VALU_DEP_4)
	v_add_f32_e32 v91, v65, v66
	v_add_f32_e32 v66, v65, v74
	;; [unrolled: 1-line block ×3, first 2 shown]
	v_fma_f32 v86, 0xbe8c1d8e, v146, -v81
	v_fmamk_f32 v71, v159, 0xbe8c1d8e, v70
	v_fmac_f32_e32 v81, 0xbe8c1d8e, v146
	v_dual_mul_f32 v80, 0xbe3c28d5, v150 :: v_dual_add_f32 v89, v65, v67
	s_delay_alu instid0(VALU_DEP_3) | instskip(NEXT) | instid1(VALU_DEP_3)
	v_dual_add_f32 v86, v64, v86 :: v_dual_add_f32 v71, v65, v71
	v_add_f32_e32 v81, v64, v81
	v_fma_f32 v70, 0xbe8c1d8e, v159, -v70
	s_delay_alu instid0(VALU_DEP_4) | instskip(SKIP_4) | instid1(VALU_DEP_4)
	v_fma_f32 v84, 0xbf7ba420, v146, -v80
	v_mul_f32_e32 v75, 0x3ee437d1, v146
	v_fmac_f32_e32 v80, 0xbf7ba420, v146
	v_add_f32_e32 v72, v65, v72
	v_dual_add_f32 v70, v65, v70 :: v_dual_add_f32 v61, v100, v61
	v_dual_add_f32 v84, v64, v84 :: v_dual_add_f32 v75, v75, v162
	s_delay_alu instid0(VALU_DEP_4)
	v_add_f32_e32 v80, v64, v80
	v_add_f32_e32 v62, v65, v78
	v_mul_f32_e32 v65, 0x3f3d2fb0, v106
	v_mul_f32_e32 v146, 0xbf763a35, v135
	v_add_f32_e32 v67, v64, v75
	v_add_f32_e32 v75, v64, v77
	s_delay_alu instid0(VALU_DEP_4) | instskip(SKIP_3) | instid1(VALU_DEP_4)
	v_dual_add_f32 v82, v64, v82 :: v_dual_add_f32 v65, v65, v151
	v_mul_f32_e32 v64, 0xbf2c7751, v109
	v_mul_f32_e32 v148, 0xbf06c442, v118
	;; [unrolled: 1-line block ×3, first 2 shown]
	v_add_f32_e32 v63, v65, v63
	s_delay_alu instid0(VALU_DEP_4) | instskip(NEXT) | instid1(VALU_DEP_1)
	v_dual_mul_f32 v65, 0x3ee437d1, v110 :: v_dual_sub_f32 v64, v153, v64
	v_add_f32_e32 v65, v65, v167
	s_delay_alu instid0(VALU_DEP_1) | instskip(SKIP_1) | instid1(VALU_DEP_1)
	v_add_f32_e32 v63, v65, v63
	v_mul_f32_e32 v65, 0x3dbcf732, v113
	v_add_f32_e32 v65, v65, v177
	s_delay_alu instid0(VALU_DEP_1) | instskip(SKIP_1) | instid1(VALU_DEP_1)
	v_add_f32_e32 v63, v65, v63
	v_dual_mul_f32 v65, 0xbe8c1d8e, v117 :: v_dual_add_f32 v62, v64, v62
	v_dual_add_f32 v65, v65, v183 :: v_dual_mul_f32 v64, 0xbf65296c, v114
	s_delay_alu instid0(VALU_DEP_1) | instskip(NEXT) | instid1(VALU_DEP_2)
	v_add_f32_e32 v63, v65, v63
	v_dual_sub_f32 v64, v169, v64 :: v_dual_mul_f32 v65, 0xbf1a4643, v122
	s_delay_alu instid0(VALU_DEP_1) | instskip(NEXT) | instid1(VALU_DEP_1)
	v_dual_add_f32 v62, v64, v62 :: v_dual_add_f32 v65, v65, v189
	v_dual_mul_f32 v64, 0xbf7ee86f, v118 :: v_dual_add_f32 v63, v65, v63
	s_delay_alu instid0(VALU_DEP_1) | instskip(NEXT) | instid1(VALU_DEP_1)
	v_dual_sub_f32 v64, v180, v64 :: v_dual_mul_f32 v65, 0xbe3c28d5, v135
	v_add_f32_e32 v62, v64, v62
	v_mul_f32_e32 v64, 0xbf763a35, v121
	s_delay_alu instid0(VALU_DEP_1) | instskip(NEXT) | instid1(VALU_DEP_1)
	v_dual_sub_f32 v65, v199, v65 :: v_dual_sub_f32 v64, v186, v64
	v_add_f32_e32 v62, v64, v62
	v_mul_f32_e32 v64, 0xbf4c4adb, v125
	s_delay_alu instid0(VALU_DEP_1) | instskip(NEXT) | instid1(VALU_DEP_1)
	v_sub_f32_e32 v64, v192, v64
	v_add_f32_e32 v62, v64, v62
	v_mul_f32_e32 v64, 0xbf06c442, v130
	s_delay_alu instid0(VALU_DEP_1) | instskip(NEXT) | instid1(VALU_DEP_1)
	v_sub_f32_e32 v64, v197, v64
	v_add_f32_e32 v62, v64, v62
	v_mul_f32_e32 v64, 0xbf59a7d5, v126
	s_delay_alu instid0(VALU_DEP_1) | instskip(NEXT) | instid1(VALU_DEP_1)
	v_add_f32_e32 v64, v64, v194
	v_add_f32_e32 v64, v64, v63
	v_mul_f32_e32 v63, 0xbf7ba420, v131
	s_delay_alu instid0(VALU_DEP_1) | instskip(SKIP_1) | instid1(VALU_DEP_2)
	v_add_f32_e32 v76, v63, v198
	v_add_f32_e32 v63, v65, v62
	v_dual_mul_f32 v65, 0x3e3c28d5, v114 :: v_dual_add_f32 v62, v76, v64
	v_mul_f32_e32 v64, 0xbf4c4adb, v109
	s_delay_alu instid0(VALU_DEP_2) | instskip(NEXT) | instid1(VALU_DEP_2)
	v_sub_f32_e32 v65, v161, v65
	v_sub_f32_e32 v64, v145, v64
	s_delay_alu instid0(VALU_DEP_1) | instskip(SKIP_1) | instid1(VALU_DEP_1)
	v_add_f32_e32 v64, v64, v66
	v_mul_f32_e32 v66, 0xbf1a4643, v106
	v_add_f32_e32 v66, v66, v143
	v_mul_f32_e32 v143, 0xbf4c4adb, v135
	s_delay_alu instid0(VALU_DEP_2) | instskip(NEXT) | instid1(VALU_DEP_1)
	v_dual_add_f32 v66, v66, v67 :: v_dual_mul_f32 v67, 0xbf7ba420, v110
	v_dual_add_f32 v67, v67, v149 :: v_dual_add_f32 v64, v65, v64
	v_mul_f32_e32 v65, 0x3f763a35, v118
	s_delay_alu instid0(VALU_DEP_2) | instskip(NEXT) | instid1(VALU_DEP_2)
	v_dual_add_f32 v66, v67, v66 :: v_dual_mul_f32 v67, 0xbe8c1d8e, v113
	v_sub_f32_e32 v65, v172, v65
	s_delay_alu instid0(VALU_DEP_1) | instskip(SKIP_1) | instid1(VALU_DEP_1)
	v_dual_add_f32 v67, v67, v166 :: v_dual_add_f32 v64, v65, v64
	v_mul_f32_e32 v65, 0x3f2c7751, v121
	v_sub_f32_e32 v65, v181, v65
	s_delay_alu instid0(VALU_DEP_1) | instskip(NEXT) | instid1(VALU_DEP_1)
	v_dual_add_f32 v64, v65, v64 :: v_dual_mul_f32 v65, 0xbeb8f4ab, v125
	v_sub_f32_e32 v65, v187, v65
	s_delay_alu instid0(VALU_DEP_1) | instskip(SKIP_1) | instid1(VALU_DEP_1)
	v_dual_add_f32 v64, v65, v64 :: v_dual_add_f32 v65, v67, v66
	v_mul_f32_e32 v67, 0xbf7ee86f, v130
	v_sub_f32_e32 v67, v193, v67
	s_delay_alu instid0(VALU_DEP_1) | instskip(NEXT) | instid1(VALU_DEP_1)
	v_dual_add_f32 v64, v67, v64 :: v_dual_mul_f32 v67, 0xbf06c442, v135
	v_dual_mul_f32 v66, 0x3f3d2fb0, v117 :: v_dual_sub_f32 v67, v196, v67
	s_delay_alu instid0(VALU_DEP_1) | instskip(NEXT) | instid1(VALU_DEP_1)
	v_add_f32_e32 v66, v66, v178
	v_dual_add_f32 v65, v66, v65 :: v_dual_mul_f32 v66, 0x3f6eb680, v122
	s_delay_alu instid0(VALU_DEP_1) | instskip(NEXT) | instid1(VALU_DEP_1)
	v_add_f32_e32 v66, v66, v184
	v_dual_add_f32 v65, v66, v65 :: v_dual_mul_f32 v66, 0x3dbcf732, v126
	;; [unrolled: 3-line block ×3, first 2 shown]
	s_delay_alu instid0(VALU_DEP_1) | instskip(SKIP_1) | instid1(VALU_DEP_2)
	v_dual_add_f32 v76, v65, v195 :: v_dual_add_f32 v65, v67, v64
	v_mul_f32_e32 v67, 0xbf4c4adb, v114
	v_add_f32_e32 v64, v76, v66
	s_delay_alu instid0(VALU_DEP_2) | instskip(NEXT) | instid1(VALU_DEP_1)
	v_dual_mul_f32 v66, 0xbf7ee86f, v109 :: v_dual_sub_f32 v67, v142, v67
	v_sub_f32_e32 v66, v138, v66
	s_delay_alu instid0(VALU_DEP_1) | instskip(SKIP_1) | instid1(VALU_DEP_1)
	v_add_f32_e32 v66, v66, v74
	v_mul_f32_e32 v74, 0x3dbcf732, v106
	v_add_f32_e32 v74, v74, v136
	s_delay_alu instid0(VALU_DEP_1) | instskip(NEXT) | instid1(VALU_DEP_1)
	v_dual_add_f32 v74, v74, v75 :: v_dual_mul_f32 v75, 0xbf1a4643, v110
	v_add_f32_e32 v75, v75, v140
	v_add_f32_e32 v66, v67, v66
	v_mul_f32_e32 v67, 0xbe3c28d5, v118
	s_delay_alu instid0(VALU_DEP_3) | instskip(NEXT) | instid1(VALU_DEP_2)
	v_dual_add_f32 v74, v75, v74 :: v_dual_mul_f32 v75, 0xbf7ba420, v113
	v_sub_f32_e32 v67, v155, v67
	s_delay_alu instid0(VALU_DEP_2) | instskip(NEXT) | instid1(VALU_DEP_2)
	v_add_f32_e32 v75, v75, v147
	v_dual_add_f32 v66, v67, v66 :: v_dual_mul_f32 v67, 0x3f06c442, v121
	v_mul_f32_e32 v147, 0x3f763a35, v109
	s_delay_alu instid0(VALU_DEP_2) | instskip(NEXT) | instid1(VALU_DEP_1)
	v_sub_f32_e32 v67, v170, v67
	v_dual_add_f32 v66, v67, v66 :: v_dual_mul_f32 v67, 0x3f763a35, v125
	s_delay_alu instid0(VALU_DEP_1) | instskip(NEXT) | instid1(VALU_DEP_1)
	v_sub_f32_e32 v67, v179, v67
	v_add_f32_e32 v66, v67, v66
	v_dual_add_f32 v67, v75, v74 :: v_dual_mul_f32 v74, 0xbf59a7d5, v117
	s_delay_alu instid0(VALU_DEP_1) | instskip(NEXT) | instid1(VALU_DEP_1)
	v_dual_mul_f32 v75, 0x3f65296c, v130 :: v_dual_add_f32 v74, v74, v164
	v_sub_f32_e32 v75, v185, v75
	s_delay_alu instid0(VALU_DEP_1) | instskip(SKIP_1) | instid1(VALU_DEP_1)
	v_dual_add_f32 v67, v74, v67 :: v_dual_add_f32 v66, v75, v66
	v_mul_f32_e32 v75, 0x3eb8f4ab, v135
	v_dual_mul_f32 v74, 0xbe8c1d8e, v122 :: v_dual_sub_f32 v75, v191, v75
	s_delay_alu instid0(VALU_DEP_1) | instskip(NEXT) | instid1(VALU_DEP_1)
	v_add_f32_e32 v74, v74, v174
	v_dual_add_f32 v67, v74, v67 :: v_dual_mul_f32 v74, 0x3ee437d1, v126
	s_delay_alu instid0(VALU_DEP_1) | instskip(NEXT) | instid1(VALU_DEP_1)
	v_add_f32_e32 v74, v74, v182
	v_add_f32_e32 v74, v74, v67
	v_mul_f32_e32 v67, 0x3f6eb680, v131
	s_delay_alu instid0(VALU_DEP_1) | instskip(SKIP_1) | instid1(VALU_DEP_2)
	v_add_f32_e32 v76, v67, v188
	v_add_f32_e32 v67, v75, v66
	v_dual_mul_f32 v75, 0x3f06c442, v109 :: v_dual_add_f32 v66, v76, v74
	v_mul_lo_u16 v74, v102, 17
	v_mul_f32_e32 v76, 0xbf65296c, v118
	s_delay_alu instid0(VALU_DEP_2) | instskip(NEXT) | instid1(VALU_DEP_1)
	v_and_b32_e32 v74, 0xffff, v74
	v_lshlrev_b32_e32 v74, 3, v74
	ds_store_2addr_b64 v74, v[60:61], v[62:63] offset1:1
	ds_store_2addr_b64 v74, v[66:67], v[64:65] offset0:2 offset1:3
	v_fma_f32 v60, 0xbf59a7d5, v104, -v75
	v_mul_f32_e32 v62, 0x3f2c7751, v112
	v_mul_f32_e32 v63, 0xbf4c4adb, v133
	;; [unrolled: 1-line block ×3, first 2 shown]
	s_delay_alu instid0(VALU_DEP_4)
	v_dual_mul_f32 v65, 0xbf06c442, v125 :: v_dual_add_f32 v60, v60, v70
	v_mul_f32_e32 v70, 0x3f2c7751, v114
	v_fma_f32 v78, 0x3f3d2fb0, v110, -v62
	v_fmac_f32_e32 v62, 0x3f3d2fb0, v110
	v_fma_f32 v142, 0xbf1a4643, v131, -v63
	v_fmac_f32_e32 v63, 0xbf1a4643, v131
	v_fma_f32 v61, 0x3f3d2fb0, v105, -v70
	v_add_f32_e32 v64, v64, v127
	v_dual_mul_f32 v136, 0xbeb8f4ab, v130 :: v_dual_sub_f32 v65, v158, v65
	s_delay_alu instid0(VALU_DEP_3) | instskip(SKIP_1) | instid1(VALU_DEP_1)
	v_dual_mul_f32 v127, 0x3f4c4adb, v118 :: v_dual_add_f32 v60, v61, v60
	v_fma_f32 v61, 0x3ee437d1, v107, -v76
	v_dual_mul_f32 v67, 0xbf763a35, v133 :: v_dual_add_f32 v60, v61, v60
	v_mul_f32_e32 v61, 0x3f06c442, v108
	s_delay_alu instid0(VALU_DEP_2) | instskip(SKIP_1) | instid1(VALU_DEP_3)
	v_fma_f32 v145, 0xbe8c1d8e, v131, -v67
	v_fmac_f32_e32 v67, 0xbe8c1d8e, v131
	v_fma_f32 v77, 0xbf59a7d5, v106, -v61
	v_fmac_f32_e32 v61, 0xbf59a7d5, v106
	s_delay_alu instid0(VALU_DEP_1) | instskip(SKIP_1) | instid1(VALU_DEP_2)
	v_add_f32_e32 v61, v61, v81
	v_mul_f32_e32 v81, 0xbe3c28d5, v121
	v_add_f32_e32 v61, v62, v61
	s_delay_alu instid0(VALU_DEP_2) | instskip(NEXT) | instid1(VALU_DEP_1)
	v_fma_f32 v62, 0xbf7ba420, v111, -v81
	v_add_f32_e32 v60, v62, v60
	v_mul_f32_e32 v62, 0xbf65296c, v116
	s_delay_alu instid0(VALU_DEP_1) | instskip(SKIP_1) | instid1(VALU_DEP_1)
	v_fma_f32 v87, 0x3ee437d1, v113, -v62
	v_fmac_f32_e32 v62, 0x3ee437d1, v113
	v_add_f32_e32 v61, v62, v61
	v_fma_f32 v62, 0x3dbcf732, v115, -v99
	s_delay_alu instid0(VALU_DEP_1) | instskip(SKIP_1) | instid1(VALU_DEP_1)
	v_add_f32_e32 v60, v62, v60
	v_mul_f32_e32 v62, 0xbe3c28d5, v120
	v_fma_f32 v100, 0xbf7ba420, v117, -v62
	v_fmac_f32_e32 v62, 0xbf7ba420, v117
	s_delay_alu instid0(VALU_DEP_1) | instskip(SKIP_1) | instid1(VALU_DEP_1)
	v_add_f32_e32 v61, v62, v61
	v_fma_f32 v62, 0x3f6eb680, v119, -v136
	v_add_f32_e32 v60, v62, v60
	v_mul_f32_e32 v62, 0x3f7ee86f, v124
	s_delay_alu instid0(VALU_DEP_1) | instskip(SKIP_1) | instid1(VALU_DEP_1)
	v_fma_f32 v138, 0x3dbcf732, v122, -v62
	v_fmac_f32_e32 v62, 0x3dbcf732, v122
	v_add_f32_e32 v61, v62, v61
	v_mul_f32_e32 v62, 0xbeb8f4ab, v129
	s_delay_alu instid0(VALU_DEP_1) | instskip(SKIP_1) | instid1(VALU_DEP_1)
	v_fma_f32 v140, 0x3f6eb680, v126, -v62
	v_fmac_f32_e32 v62, 0x3f6eb680, v126
	v_add_f32_e32 v62, v62, v61
	v_fma_f32 v61, 0xbf1a4643, v123, -v143
	s_delay_alu instid0(VALU_DEP_1) | instskip(SKIP_2) | instid1(VALU_DEP_1)
	v_dual_add_f32 v61, v61, v60 :: v_dual_add_f32 v60, v63, v62
	v_mul_f32_e32 v62, 0xbe3c28d5, v109
	v_mul_f32_e32 v63, 0x3f763a35, v114
	v_dual_sub_f32 v62, v128, v62 :: v_dual_sub_f32 v63, v134, v63
	s_delay_alu instid0(VALU_DEP_1) | instskip(SKIP_1) | instid1(VALU_DEP_2)
	v_add_f32_e32 v62, v62, v72
	v_mul_f32_e32 v72, 0x3f65296c, v109
	v_add_f32_e32 v62, v63, v62
	v_mul_f32_e32 v63, 0x3eb8f4ab, v118
	s_delay_alu instid0(VALU_DEP_1) | instskip(NEXT) | instid1(VALU_DEP_1)
	v_sub_f32_e32 v63, v139, v63
	v_dual_add_f32 v62, v63, v62 :: v_dual_mul_f32 v63, 0xbf65296c, v121
	s_delay_alu instid0(VALU_DEP_1) | instskip(NEXT) | instid1(VALU_DEP_1)
	v_sub_f32_e32 v63, v144, v63
	v_dual_add_f32 v62, v63, v62 :: v_dual_add_f32 v63, v64, v73
	v_mul_f32_e32 v64, 0xbe8c1d8e, v110
	s_delay_alu instid0(VALU_DEP_2) | instskip(SKIP_1) | instid1(VALU_DEP_1)
	v_add_f32_e32 v62, v65, v62
	v_mul_f32_e32 v65, 0x3f4c4adb, v130
	v_sub_f32_e32 v65, v171, v65
	s_delay_alu instid0(VALU_DEP_1) | instskip(NEXT) | instid1(VALU_DEP_1)
	v_dual_add_f32 v62, v65, v62 :: v_dual_mul_f32 v65, 0x3f2c7751, v135
	v_sub_f32_e32 v65, v176, v65
	v_add_f32_e32 v64, v64, v132
	s_delay_alu instid0(VALU_DEP_1) | instskip(SKIP_1) | instid1(VALU_DEP_1)
	v_dual_mul_f32 v132, 0xbeb8f4ab, v121 :: v_dual_add_f32 v63, v64, v63
	v_mul_f32_e32 v64, 0x3f6eb680, v113
	v_add_f32_e32 v64, v64, v137
	v_mul_f32_e32 v137, 0xbe3c28d5, v125
	s_delay_alu instid0(VALU_DEP_2) | instskip(NEXT) | instid1(VALU_DEP_1)
	v_dual_add_f32 v63, v64, v63 :: v_dual_mul_f32 v64, 0x3ee437d1, v117
	v_dual_add_f32 v64, v64, v141 :: v_dual_mul_f32 v141, 0x3f2c7751, v130
	s_delay_alu instid0(VALU_DEP_1) | instskip(NEXT) | instid1(VALU_DEP_1)
	v_dual_add_f32 v63, v64, v63 :: v_dual_mul_f32 v64, 0xbf59a7d5, v122
	v_add_f32_e32 v64, v64, v152
	s_delay_alu instid0(VALU_DEP_1) | instskip(NEXT) | instid1(VALU_DEP_1)
	v_dual_add_f32 v63, v64, v63 :: v_dual_mul_f32 v64, 0xbf1a4643, v126
	v_add_f32_e32 v64, v64, v165
	s_delay_alu instid0(VALU_DEP_1) | instskip(SKIP_1) | instid1(VALU_DEP_1)
	v_add_f32_e32 v64, v64, v63
	v_mul_f32_e32 v63, 0x3f3d2fb0, v131
	v_dual_add_f32 v66, v63, v175 :: v_dual_add_f32 v63, v65, v62
	v_mul_f32_e32 v65, 0x3f65296c, v108
	s_delay_alu instid0(VALU_DEP_2) | instskip(SKIP_1) | instid1(VALU_DEP_3)
	v_add_f32_e32 v62, v66, v64
	v_fma_f32 v64, 0x3ee437d1, v104, -v72
	v_fma_f32 v73, 0x3ee437d1, v106, -v65
	v_fmac_f32_e32 v65, 0x3ee437d1, v106
	v_mul_f32_e32 v158, 0x3f65296c, v133
	s_delay_alu instid0(VALU_DEP_2) | instskip(SKIP_1) | instid1(VALU_DEP_3)
	v_dual_add_f32 v64, v64, v90 :: v_dual_add_f32 v65, v65, v79
	v_mul_f32_e32 v79, 0xbf7ee86f, v114
	v_fma_f32 v159, 0x3ee437d1, v131, -v158
	v_fmac_f32_e32 v158, 0x3ee437d1, v131
	s_delay_alu instid0(VALU_DEP_3) | instskip(NEXT) | instid1(VALU_DEP_1)
	v_fma_f32 v66, 0x3dbcf732, v105, -v79
	v_add_f32_e32 v64, v66, v64
	v_mul_f32_e32 v66, 0xbf7ee86f, v112
	s_delay_alu instid0(VALU_DEP_1) | instskip(SKIP_1) | instid1(VALU_DEP_1)
	v_fma_f32 v90, 0x3dbcf732, v110, -v66
	v_fmac_f32_e32 v66, 0x3dbcf732, v110
	v_add_f32_e32 v65, v66, v65
	v_fma_f32 v66, 0xbf1a4643, v107, -v127
	s_delay_alu instid0(VALU_DEP_1) | instskip(SKIP_1) | instid1(VALU_DEP_1)
	v_add_f32_e32 v64, v66, v64
	v_mul_f32_e32 v66, 0x3f4c4adb, v116
	v_fma_f32 v128, 0xbf1a4643, v113, -v66
	v_fmac_f32_e32 v66, 0xbf1a4643, v113
	s_delay_alu instid0(VALU_DEP_1) | instskip(SKIP_1) | instid1(VALU_DEP_1)
	v_add_f32_e32 v65, v66, v65
	v_fma_f32 v66, 0x3f6eb680, v111, -v132
	v_add_f32_e32 v64, v66, v64
	v_mul_f32_e32 v66, 0xbeb8f4ab, v120
	s_delay_alu instid0(VALU_DEP_1) | instskip(SKIP_1) | instid1(VALU_DEP_1)
	v_fma_f32 v134, 0x3f6eb680, v117, -v66
	v_fmac_f32_e32 v66, 0x3f6eb680, v117
	v_add_f32_e32 v65, v66, v65
	v_fma_f32 v66, 0xbf7ba420, v115, -v137
	s_delay_alu instid0(VALU_DEP_1) | instskip(SKIP_1) | instid1(VALU_DEP_1)
	v_add_f32_e32 v64, v66, v64
	v_mul_f32_e32 v66, 0xbe3c28d5, v124
	v_fma_f32 v139, 0xbf7ba420, v122, -v66
	v_fmac_f32_e32 v66, 0xbf7ba420, v122
	s_delay_alu instid0(VALU_DEP_1) | instskip(SKIP_1) | instid1(VALU_DEP_1)
	v_add_f32_e32 v65, v66, v65
	v_fma_f32 v66, 0x3f3d2fb0, v119, -v141
	v_add_f32_e32 v64, v66, v64
	v_mul_f32_e32 v66, 0x3f2c7751, v129
	s_delay_alu instid0(VALU_DEP_1) | instskip(SKIP_1) | instid1(VALU_DEP_1)
	v_fma_f32 v144, 0x3f3d2fb0, v126, -v66
	v_fmac_f32_e32 v66, 0x3f3d2fb0, v126
	v_add_f32_e32 v66, v66, v65
	v_fma_f32 v65, 0xbe8c1d8e, v123, -v146
	s_delay_alu instid0(VALU_DEP_1) | instskip(SKIP_1) | instid1(VALU_DEP_1)
	v_dual_add_f32 v65, v65, v64 :: v_dual_add_f32 v64, v67, v66
	v_fma_f32 v66, 0xbe8c1d8e, v104, -v147
	v_add_f32_e32 v66, v66, v68
	v_mul_f32_e32 v68, 0xbeb8f4ab, v114
	s_delay_alu instid0(VALU_DEP_1) | instskip(NEXT) | instid1(VALU_DEP_1)
	v_fma_f32 v67, 0x3f6eb680, v105, -v68
	v_add_f32_e32 v66, v67, v66
	v_fma_f32 v67, 0xbf59a7d5, v107, -v148
	s_delay_alu instid0(VALU_DEP_1) | instskip(NEXT) | instid1(VALU_DEP_1)
	v_dual_add_f32 v66, v67, v66 :: v_dual_mul_f32 v67, 0x3f763a35, v108
	v_fma_f32 v149, 0xbe8c1d8e, v106, -v67
	v_fmac_f32_e32 v67, 0xbe8c1d8e, v106
	s_delay_alu instid0(VALU_DEP_1) | instskip(NEXT) | instid1(VALU_DEP_1)
	v_dual_add_f32 v67, v67, v82 :: v_dual_mul_f32 v82, 0x3f7ee86f, v121
	v_fma_f32 v150, 0x3dbcf732, v111, -v82
	s_delay_alu instid0(VALU_DEP_1) | instskip(SKIP_1) | instid1(VALU_DEP_1)
	v_add_f32_e32 v66, v150, v66
	v_mul_f32_e32 v150, 0xbeb8f4ab, v112
	v_fma_f32 v151, 0x3f6eb680, v110, -v150
	v_fmac_f32_e32 v150, 0x3f6eb680, v110
	s_delay_alu instid0(VALU_DEP_1) | instskip(NEXT) | instid1(VALU_DEP_1)
	v_dual_add_f32 v67, v150, v67 :: v_dual_mul_f32 v150, 0xbf2c7751, v125
	v_fma_f32 v152, 0x3f3d2fb0, v115, -v150
	s_delay_alu instid0(VALU_DEP_1) | instskip(SKIP_1) | instid1(VALU_DEP_1)
	v_add_f32_e32 v66, v152, v66
	v_mul_f32_e32 v152, 0xbf06c442, v116
	v_fma_f32 v153, 0xbf59a7d5, v113, -v152
	v_fmac_f32_e32 v152, 0xbf59a7d5, v113
	s_delay_alu instid0(VALU_DEP_1) | instskip(NEXT) | instid1(VALU_DEP_1)
	v_dual_add_f32 v67, v152, v67 :: v_dual_mul_f32 v152, 0x3f7ee86f, v120
	v_fma_f32 v154, 0x3dbcf732, v117, -v152
	v_fmac_f32_e32 v152, 0x3dbcf732, v117
	s_delay_alu instid0(VALU_DEP_1) | instskip(NEXT) | instid1(VALU_DEP_1)
	v_dual_add_f32 v67, v152, v67 :: v_dual_mul_f32 v152, 0xbe3c28d5, v130
	v_fma_f32 v155, 0xbf7ba420, v119, -v152
	s_delay_alu instid0(VALU_DEP_1) | instskip(NEXT) | instid1(VALU_DEP_1)
	v_dual_add_f32 v66, v155, v66 :: v_dual_mul_f32 v155, 0xbf2c7751, v124
	v_fma_f32 v156, 0x3f3d2fb0, v122, -v155
	v_fmac_f32_e32 v155, 0x3f3d2fb0, v122
	v_mul_f32_e32 v160, 0x3f65296c, v135
	s_delay_alu instid0(VALU_DEP_2) | instskip(SKIP_1) | instid1(VALU_DEP_1)
	v_add_f32_e32 v67, v155, v67
	v_mul_f32_e32 v155, 0xbe3c28d5, v129
	v_fma_f32 v157, 0xbf7ba420, v126, -v155
	v_fmac_f32_e32 v155, 0xbf7ba420, v126
	s_delay_alu instid0(VALU_DEP_1) | instskip(SKIP_1) | instid1(VALU_DEP_1)
	v_add_f32_e32 v155, v155, v67
	v_fma_f32 v67, 0x3ee437d1, v123, -v160
	v_dual_add_f32 v67, v67, v66 :: v_dual_add_f32 v66, v158, v155
	ds_store_2addr_b64 v74, v[62:63], v[60:61] offset0:4 offset1:5
	ds_store_2addr_b64 v74, v[66:67], v[64:65] offset0:6 offset1:7
	v_dual_mul_f32 v62, 0x3eb8f4ab, v109 :: v_dual_mul_f32 v63, 0x3eb8f4ab, v108
	v_mul_f32_e32 v64, 0xbf06c442, v114
	s_delay_alu instid0(VALU_DEP_2) | instskip(NEXT) | instid1(VALU_DEP_3)
	v_fmamk_f32 v60, v104, 0x3f6eb680, v62
	v_fma_f32 v61, 0x3f6eb680, v106, -v63
	v_fmac_f32_e32 v63, 0x3f6eb680, v106
	s_delay_alu instid0(VALU_DEP_3) | instskip(NEXT) | instid1(VALU_DEP_3)
	v_dual_fmamk_f32 v65, v105, 0xbf59a7d5, v64 :: v_dual_add_f32 v60, v60, v89
	v_add_f32_e32 v61, v61, v84
	s_delay_alu instid0(VALU_DEP_3) | instskip(NEXT) | instid1(VALU_DEP_3)
	v_add_f32_e32 v63, v63, v80
	v_add_f32_e32 v60, v65, v60
	v_mul_f32_e32 v65, 0xbf06c442, v112
	s_delay_alu instid0(VALU_DEP_1) | instskip(SKIP_1) | instid1(VALU_DEP_2)
	v_fma_f32 v66, 0xbf59a7d5, v110, -v65
	v_fmac_f32_e32 v65, 0xbf59a7d5, v110
	v_dual_add_f32 v61, v66, v61 :: v_dual_mul_f32 v66, 0x3f2c7751, v118
	s_delay_alu instid0(VALU_DEP_2) | instskip(SKIP_1) | instid1(VALU_DEP_3)
	v_add_f32_e32 v63, v65, v63
	v_dual_mul_f32 v118, 0x3f7ee86f, v135 :: v_dual_add_f32 v65, v149, v85
	v_fmamk_f32 v67, v107, 0x3f3d2fb0, v66
	s_delay_alu instid0(VALU_DEP_2) | instskip(NEXT) | instid1(VALU_DEP_2)
	v_add_f32_e32 v65, v151, v65
	v_add_f32_e32 v60, v67, v60
	v_mul_f32_e32 v67, 0x3f2c7751, v116
	s_delay_alu instid0(VALU_DEP_3) | instskip(NEXT) | instid1(VALU_DEP_2)
	v_add_f32_e32 v65, v153, v65
	v_fma_f32 v84, 0x3f3d2fb0, v113, -v67
	v_fmac_f32_e32 v67, 0x3f3d2fb0, v113
	s_delay_alu instid0(VALU_DEP_3) | instskip(NEXT) | instid1(VALU_DEP_3)
	v_add_f32_e32 v65, v154, v65
	v_add_f32_e32 v61, v84, v61
	s_delay_alu instid0(VALU_DEP_3) | instskip(SKIP_1) | instid1(VALU_DEP_4)
	v_add_f32_e32 v63, v67, v63
	v_add_f32_e32 v67, v73, v83
	;; [unrolled: 1-line block ×3, first 2 shown]
	s_delay_alu instid0(VALU_DEP_2) | instskip(SKIP_1) | instid1(VALU_DEP_2)
	v_add_f32_e32 v67, v90, v67
	v_fma_f32 v62, 0x3f6eb680, v104, -v62
	v_add_f32_e32 v67, v128, v67
	s_delay_alu instid0(VALU_DEP_2) | instskip(SKIP_1) | instid1(VALU_DEP_3)
	v_add_f32_e32 v62, v62, v91
	v_fma_f32 v64, 0xbf59a7d5, v105, -v64
	v_dual_add_f32 v67, v134, v67 :: v_dual_mul_f32 v84, 0xbf4c4adb, v121
	s_delay_alu instid0(VALU_DEP_2) | instskip(SKIP_1) | instid1(VALU_DEP_3)
	v_add_f32_e32 v62, v64, v62
	v_fma_f32 v64, 0x3f3d2fb0, v107, -v66
	v_dual_fmamk_f32 v66, v105, 0x3f6eb680, v68 :: v_dual_add_f32 v67, v139, v67
	s_delay_alu instid0(VALU_DEP_4) | instskip(SKIP_1) | instid1(VALU_DEP_4)
	v_fmamk_f32 v89, v111, 0xbf1a4643, v84
	v_fmamk_f32 v68, v105, 0x3dbcf732, v79
	v_add_f32_e32 v62, v64, v62
	v_fma_f32 v64, 0xbf1a4643, v111, -v84
	s_delay_alu instid0(VALU_DEP_4) | instskip(SKIP_2) | instid1(VALU_DEP_4)
	v_add_f32_e32 v60, v89, v60
	v_mul_f32_e32 v89, 0xbf4c4adb, v120
	v_mul_f32_e32 v120, 0x3f7ee86f, v133
	v_add_f32_e32 v62, v64, v62
	s_delay_alu instid0(VALU_DEP_3) | instskip(SKIP_1) | instid1(VALU_DEP_2)
	v_fma_f32 v108, 0xbf1a4643, v117, -v89
	v_fmac_f32_e32 v89, 0xbf1a4643, v117
	v_add_f32_e32 v61, v108, v61
	s_delay_alu instid0(VALU_DEP_2) | instskip(NEXT) | instid1(VALU_DEP_1)
	v_dual_mul_f32 v108, 0x3f65296c, v125 :: v_dual_add_f32 v63, v89, v63
	v_fmamk_f32 v109, v115, 0x3ee437d1, v108
	v_fma_f32 v64, 0x3ee437d1, v115, -v108
	s_delay_alu instid0(VALU_DEP_2) | instskip(NEXT) | instid1(VALU_DEP_2)
	v_add_f32_e32 v60, v109, v60
	v_dual_mul_f32 v109, 0x3f65296c, v124 :: v_dual_add_f32 v62, v64, v62
	s_delay_alu instid0(VALU_DEP_1) | instskip(SKIP_1) | instid1(VALU_DEP_2)
	v_fma_f32 v112, 0x3ee437d1, v122, -v109
	v_fmac_f32_e32 v109, 0x3ee437d1, v122
	v_dual_add_f32 v61, v112, v61 :: v_dual_mul_f32 v112, 0xbf763a35, v130
	s_delay_alu instid0(VALU_DEP_1) | instskip(SKIP_1) | instid1(VALU_DEP_2)
	v_dual_add_f32 v63, v109, v63 :: v_dual_fmamk_f32 v114, v119, 0xbe8c1d8e, v112
	v_fma_f32 v64, 0xbe8c1d8e, v119, -v112
	v_add_f32_e32 v60, v114, v60
	v_mul_f32_e32 v114, 0xbf763a35, v129
	s_delay_alu instid0(VALU_DEP_3) | instskip(NEXT) | instid1(VALU_DEP_2)
	v_add_f32_e32 v62, v64, v62
	v_fma_f32 v116, 0xbe8c1d8e, v126, -v114
	v_fmac_f32_e32 v114, 0xbe8c1d8e, v126
	s_delay_alu instid0(VALU_DEP_2) | instskip(NEXT) | instid1(VALU_DEP_2)
	v_dual_add_f32 v116, v116, v61 :: v_dual_fmamk_f32 v61, v123, 0x3dbcf732, v118
	v_add_f32_e32 v64, v114, v63
	v_fma_f32 v63, 0x3dbcf732, v123, -v118
	s_delay_alu instid0(VALU_DEP_3) | instskip(SKIP_1) | instid1(VALU_DEP_3)
	v_add_f32_e32 v61, v61, v60
	v_fma_f32 v60, 0x3dbcf732, v131, -v120
	v_dual_fmac_f32 v120, 0x3dbcf732, v131 :: v_dual_add_f32 v63, v63, v62
	s_delay_alu instid0(VALU_DEP_2) | instskip(NEXT) | instid1(VALU_DEP_2)
	v_add_f32_e32 v60, v60, v116
	v_add_f32_e32 v62, v120, v64
	v_fmamk_f32 v64, v104, 0xbe8c1d8e, v147
	ds_store_2addr_b64 v74, v[62:63], v[60:61] offset0:8 offset1:9
	v_add_f32_e32 v64, v64, v69
	v_fmamk_f32 v60, v104, 0xbf59a7d5, v75
	v_fmamk_f32 v61, v105, 0x3f3d2fb0, v70
	v_dual_add_f32 v62, v77, v86 :: v_dual_fmamk_f32 v63, v107, 0x3ee437d1, v76
	s_delay_alu instid0(VALU_DEP_4) | instskip(SKIP_2) | instid1(VALU_DEP_2)
	v_add_f32_e32 v64, v66, v64
	v_fmamk_f32 v66, v107, 0xbf59a7d5, v148
	v_add_f32_e32 v60, v60, v71
	v_add_f32_e32 v64, v66, v64
	v_fmamk_f32 v66, v111, 0x3dbcf732, v82
	s_delay_alu instid0(VALU_DEP_3) | instskip(SKIP_1) | instid1(VALU_DEP_3)
	v_dual_add_f32 v60, v61, v60 :: v_dual_add_f32 v61, v78, v62
	v_fmamk_f32 v62, v111, 0xbf7ba420, v81
	v_add_f32_e32 v64, v66, v64
	v_fmamk_f32 v66, v115, 0x3f3d2fb0, v150
	s_delay_alu instid0(VALU_DEP_4) | instskip(SKIP_1) | instid1(VALU_DEP_3)
	v_add_f32_e32 v60, v63, v60
	v_add_f32_e32 v61, v87, v61
	v_dual_fmamk_f32 v63, v115, 0x3dbcf732, v99 :: v_dual_add_f32 v64, v66, v64
	v_fmamk_f32 v66, v119, 0xbf7ba420, v152
	s_delay_alu instid0(VALU_DEP_3) | instskip(SKIP_1) | instid1(VALU_DEP_3)
	v_dual_add_f32 v60, v62, v60 :: v_dual_add_f32 v61, v100, v61
	v_fmamk_f32 v62, v119, 0x3f6eb680, v136
	v_add_f32_e32 v64, v66, v64
	v_add_f32_e32 v66, v157, v65
	s_delay_alu instid0(VALU_DEP_4) | instskip(SKIP_1) | instid1(VALU_DEP_2)
	v_add_f32_e32 v61, v138, v61
	v_fmamk_f32 v65, v123, 0x3ee437d1, v160
	v_dual_add_f32 v60, v63, v60 :: v_dual_add_f32 v63, v140, v61
	s_delay_alu instid0(VALU_DEP_2) | instskip(SKIP_1) | instid1(VALU_DEP_3)
	v_dual_add_f32 v65, v65, v64 :: v_dual_add_f32 v64, v159, v66
	v_fmamk_f32 v66, v104, 0x3ee437d1, v72
	v_add_f32_e32 v60, v62, v60
	v_fmamk_f32 v62, v123, 0xbf1a4643, v143
	s_delay_alu instid0(VALU_DEP_3) | instskip(NEXT) | instid1(VALU_DEP_2)
	v_add_f32_e32 v66, v66, v88
	v_add_f32_e32 v61, v62, v60
	;; [unrolled: 1-line block ×3, first 2 shown]
	s_delay_alu instid0(VALU_DEP_3) | instskip(SKIP_1) | instid1(VALU_DEP_1)
	v_add_f32_e32 v66, v68, v66
	v_fmamk_f32 v68, v107, 0xbf1a4643, v127
	v_add_f32_e32 v66, v68, v66
	v_fmamk_f32 v68, v111, 0x3f6eb680, v132
	s_delay_alu instid0(VALU_DEP_1) | instskip(SKIP_1) | instid1(VALU_DEP_1)
	v_add_f32_e32 v66, v68, v66
	v_fmamk_f32 v68, v115, 0xbf7ba420, v137
	v_add_f32_e32 v66, v68, v66
	v_fmamk_f32 v68, v119, 0x3f3d2fb0, v141
	s_delay_alu instid0(VALU_DEP_1) | instskip(SKIP_1) | instid1(VALU_DEP_1)
	v_add_f32_e32 v66, v68, v66
	v_dual_add_f32 v68, v144, v67 :: v_dual_fmamk_f32 v67, v123, 0xbe8c1d8e, v146
	v_dual_add_f32 v67, v67, v66 :: v_dual_add_f32 v66, v145, v68
	ds_store_2addr_b64 v74, v[66:67], v[64:65] offset0:10 offset1:11
	ds_store_2addr_b64 v74, v[60:61], v[97:98] offset0:12 offset1:13
	;; [unrolled: 1-line block ×3, first 2 shown]
	ds_store_b64 v74, v[58:59] offset:128
.LBB0_17:
	s_wait_alu 0xfffe
	s_or_b32 exec_lo, exec_lo, s1
	global_wb scope:SCOPE_SE
	s_wait_dscnt 0x0
	s_barrier_signal -1
	s_barrier_wait -1
	global_inv scope:SCOPE_SE
	ds_load_2addr_b64 v[63:66], v101 offset1:153
	v_add_nc_u32_e32 v60, 0x800, v101
	v_add_nc_u32_e32 v61, 0x1000, v101
	;; [unrolled: 1-line block ×3, first 2 shown]
	s_wait_dscnt 0x0
	v_mul_f32_e32 v87, v37, v66
	ds_load_2addr_b64 v[67:70], v60 offset0:50 offset1:203
	ds_load_2addr_b64 v[71:74], v61 offset0:100 offset1:253
	v_mul_f32_e32 v37, v37, v65
	v_add_nc_u32_e32 v62, 0x2e00, v101
	ds_load_b64 v[60:61], v101 offset:14688
	v_fmac_f32_e32 v87, v36, v65
	v_fma_f32 v36, v36, v66, -v37
	s_wait_dscnt 0x2
	v_mul_f32_e32 v37, v39, v68
	s_wait_dscnt 0x1
	v_dual_mul_f32 v88, v35, v72 :: v_dual_add_nc_u32 v75, 0x1c00, v101
	v_dual_mul_f32 v39, v39, v67 :: v_dual_mul_f32 v66, v33, v69
	s_delay_alu instid0(VALU_DEP_2)
	v_dual_mul_f32 v65, v33, v70 :: v_dual_fmac_f32 v88, v34, v71
	ds_load_2addr_b64 v[75:78], v75 offset0:22 offset1:175
	ds_load_2addr_b64 v[79:82], v79 offset0:72 offset1:225
	;; [unrolled: 1-line block ×3, first 2 shown]
	v_mul_f32_e32 v33, v25, v74
	v_fmac_f32_e32 v37, v38, v67
	v_mul_f32_e32 v35, v35, v71
	v_mul_f32_e32 v25, v25, v73
	v_fma_f32 v38, v38, v68, -v39
	v_fma_f32 v39, v32, v70, -v66
	v_add_f32_e32 v66, v64, v36
	v_fmac_f32_e32 v65, v32, v69
	v_fma_f32 v35, v34, v72, -v35
	v_fmac_f32_e32 v33, v24, v73
	v_fma_f32 v34, v24, v74, -v25
	global_wb scope:SCOPE_SE
	s_wait_dscnt 0x0
	s_barrier_signal -1
	s_barrier_wait -1
	global_inv scope:SCOPE_SE
	v_mul_f32_e32 v32, v27, v76
	v_dual_mul_f32 v24, v27, v75 :: v_dual_mul_f32 v27, v17, v78
	s_delay_alu instid0(VALU_DEP_2) | instskip(SKIP_1) | instid1(VALU_DEP_3)
	v_dual_mul_f32 v67, v29, v82 :: v_dual_fmac_f32 v32, v26, v75
	v_add_f32_e32 v25, v63, v87
	v_fma_f32 v26, v26, v76, -v24
	v_mul_f32_e32 v17, v17, v77
	v_fmac_f32_e32 v27, v16, v77
	v_fmac_f32_e32 v67, v28, v81
	v_dual_add_f32 v24, v25, v37 :: v_dual_add_f32 v25, v66, v38
	v_mul_f32_e32 v66, v19, v80
	v_fma_f32 v16, v16, v78, -v17
	v_mul_f32_e32 v17, v19, v79
	s_delay_alu instid0(VALU_DEP_3) | instskip(SKIP_1) | instid1(VALU_DEP_3)
	v_fmac_f32_e32 v66, v18, v79
	v_add_f32_e32 v24, v24, v65
	v_fma_f32 v17, v18, v80, -v17
	v_dual_mul_f32 v18, v29, v81 :: v_dual_mul_f32 v29, v31, v84
	s_delay_alu instid0(VALU_DEP_3) | instskip(NEXT) | instid1(VALU_DEP_2)
	v_add_f32_e32 v19, v24, v88
	v_fma_f32 v18, v28, v82, -v18
	s_delay_alu instid0(VALU_DEP_3) | instskip(NEXT) | instid1(VALU_DEP_1)
	v_dual_mul_f32 v28, v21, v86 :: v_dual_fmac_f32 v29, v30, v83
	v_dual_fmac_f32 v28, v20, v85 :: v_dual_add_f32 v25, v25, v39
	s_delay_alu instid0(VALU_DEP_1) | instskip(NEXT) | instid1(VALU_DEP_1)
	v_add_f32_e32 v24, v25, v35
	v_dual_mul_f32 v25, v31, v83 :: v_dual_add_f32 v24, v24, v34
	s_delay_alu instid0(VALU_DEP_1) | instskip(SKIP_1) | instid1(VALU_DEP_3)
	v_fma_f32 v30, v30, v84, -v25
	v_mul_f32_e32 v25, v23, v60
	v_dual_mul_f32 v23, v23, v61 :: v_dual_add_f32 v24, v24, v26
	s_delay_alu instid0(VALU_DEP_2) | instskip(NEXT) | instid1(VALU_DEP_2)
	v_fma_f32 v25, v22, v61, -v25
	v_fmac_f32_e32 v23, v22, v60
	s_delay_alu instid0(VALU_DEP_3) | instskip(NEXT) | instid1(VALU_DEP_3)
	v_add_f32_e32 v24, v24, v16
	v_sub_f32_e32 v22, v36, v25
	s_delay_alu instid0(VALU_DEP_3) | instskip(NEXT) | instid1(VALU_DEP_3)
	v_dual_add_f32 v36, v36, v25 :: v_dual_add_f32 v31, v87, v23
	v_dual_sub_f32 v61, v87, v23 :: v_dual_add_f32 v24, v24, v17
	s_delay_alu instid0(VALU_DEP_3) | instskip(SKIP_1) | instid1(VALU_DEP_4)
	v_dual_mul_f32 v60, 0xbeedf032, v22 :: v_dual_add_f32 v19, v19, v33
	v_mul_f32_e32 v72, 0xbf7e222b, v22
	v_mul_f32_e32 v74, 0x3df6dbef, v36
	s_delay_alu instid0(VALU_DEP_4) | instskip(NEXT) | instid1(VALU_DEP_4)
	v_add_f32_e32 v24, v24, v18
	v_fmamk_f32 v68, v31, 0x3f62ad3f, v60
	v_add_f32_e32 v19, v19, v32
	v_mul_f32_e32 v78, 0xbeb58ec6, v36
	v_fmamk_f32 v76, v61, 0x3f7e222b, v74
	v_dual_fmac_f32 v74, 0xbf7e222b, v61 :: v_dual_add_f32 v87, v37, v28
	s_delay_alu instid0(VALU_DEP_4) | instskip(NEXT) | instid1(VALU_DEP_3)
	v_dual_add_f32 v19, v19, v27 :: v_dual_mul_f32 v80, 0xbf29c268, v22
	v_add_f32_e32 v76, v64, v76
	s_delay_alu instid0(VALU_DEP_3) | instskip(SKIP_1) | instid1(VALU_DEP_4)
	v_add_f32_e32 v74, v64, v74
	v_fma_f32 v60, 0x3f62ad3f, v31, -v60
	v_add_f32_e32 v19, v19, v66
	v_dual_mul_f32 v81, 0xbf3f9e67, v36 :: v_dual_fmamk_f32 v82, v31, 0xbf3f9e67, v80
	v_mul_f32_e32 v69, 0x3f62ad3f, v36
	s_delay_alu instid0(VALU_DEP_4) | instskip(NEXT) | instid1(VALU_DEP_4)
	v_add_f32_e32 v60, v63, v60
	v_add_f32_e32 v19, v19, v67
	v_mul_f32_e32 v75, 0xbf6f5d39, v22
	v_fmamk_f32 v73, v31, 0x3df6dbef, v72
	v_fma_f32 v72, 0x3df6dbef, v31, -v72
	v_fma_f32 v80, 0xbf3f9e67, v31, -v80
	v_add_f32_e32 v19, v19, v29
	v_add_f32_e32 v82, v63, v82
	s_delay_alu instid0(VALU_DEP_4) | instskip(NEXT) | instid1(VALU_DEP_4)
	v_add_f32_e32 v72, v63, v72
	v_add_f32_e32 v80, v63, v80
	s_delay_alu instid0(VALU_DEP_4) | instskip(SKIP_2) | instid1(VALU_DEP_2)
	v_add_f32_e32 v19, v19, v28
	v_mul_f32_e32 v21, v21, v85
	v_sub_f32_e32 v28, v37, v28
	v_fma_f32 v20, v20, v86, -v21
	s_delay_alu instid0(VALU_DEP_4) | instskip(SKIP_2) | instid1(VALU_DEP_4)
	v_dual_add_f32 v21, v24, v30 :: v_dual_add_f32 v24, v19, v23
	v_add_f32_e32 v19, v63, v68
	v_mul_f32_e32 v23, 0xbf52af12, v22
	v_dual_mul_f32 v22, 0xbe750f2a, v22 :: v_dual_sub_f32 v85, v38, v20
	v_mul_f32_e32 v68, 0x3f116cb1, v36
	v_mul_f32_e32 v36, 0xbf788fa5, v36
	s_delay_alu instid0(VALU_DEP_3) | instskip(SKIP_3) | instid1(VALU_DEP_4)
	v_fmamk_f32 v84, v31, 0xbf788fa5, v22
	v_fma_f32 v22, 0xbf788fa5, v31, -v22
	v_fmamk_f32 v79, v61, 0x3f6f5d39, v78
	v_fmac_f32_e32 v78, 0xbf6f5d39, v61
	v_add_f32_e32 v84, v63, v84
	s_delay_alu instid0(VALU_DEP_4) | instskip(SKIP_1) | instid1(VALU_DEP_4)
	v_add_f32_e32 v22, v63, v22
	v_dual_fmamk_f32 v70, v31, 0x3f116cb1, v23 :: v_dual_add_f32 v21, v21, v20
	v_add_f32_e32 v78, v64, v78
	v_fmamk_f32 v86, v61, 0x3e750f2a, v36
	v_dual_fmamk_f32 v71, v61, 0x3f52af12, v68 :: v_dual_add_f32 v20, v38, v20
	s_delay_alu instid0(VALU_DEP_4)
	v_add_f32_e32 v25, v21, v25
	v_fmamk_f32 v21, v61, 0x3eedf032, v69
	v_fmac_f32_e32 v69, 0xbeedf032, v61
	v_fma_f32 v23, 0x3f116cb1, v31, -v23
	v_fmac_f32_e32 v68, 0xbf52af12, v61
	v_fmamk_f32 v83, v61, 0x3f29c268, v81
	v_add_f32_e32 v21, v64, v21
	v_add_f32_e32 v69, v64, v69
	v_fmac_f32_e32 v81, 0xbf29c268, v61
	v_fmac_f32_e32 v36, 0xbe750f2a, v61
	v_add_f32_e32 v38, v64, v86
	v_add_f32_e32 v71, v64, v71
	v_dual_add_f32 v23, v63, v23 :: v_dual_add_f32 v68, v64, v68
	s_delay_alu instid0(VALU_DEP_4)
	v_dual_add_f32 v36, v64, v36 :: v_dual_add_f32 v73, v63, v73
	v_add_f32_e32 v79, v64, v79
	v_dual_add_f32 v83, v64, v83 :: v_dual_mul_f32 v86, 0xbf3f9e67, v20
	v_add_f32_e32 v81, v64, v81
	v_mul_f32_e32 v89, 0xbf52af12, v85
	v_dual_mul_f32 v64, 0xbeb58ec6, v20 :: v_dual_fmamk_f32 v77, v31, 0xbeb58ec6, v75
	v_fma_f32 v75, 0xbeb58ec6, v31, -v75
	v_dual_add_f32 v70, v63, v70 :: v_dual_mul_f32 v37, 0x3f116cb1, v20
	v_mul_f32_e32 v61, 0xbf6f5d39, v85
	s_delay_alu instid0(VALU_DEP_4) | instskip(NEXT) | instid1(VALU_DEP_4)
	v_add_f32_e32 v77, v63, v77
	v_add_f32_e32 v75, v63, v75
	v_fma_f32 v63, 0x3f116cb1, v87, -v89
	s_delay_alu instid0(VALU_DEP_1) | instskip(SKIP_2) | instid1(VALU_DEP_3)
	v_dual_add_f32 v60, v63, v60 :: v_dual_fmamk_f32 v63, v28, 0x3f6f5d39, v64
	v_fmac_f32_e32 v64, 0xbf6f5d39, v28
	v_fmamk_f32 v31, v87, 0x3f116cb1, v89
	v_add_f32_e32 v63, v63, v71
	v_mul_f32_e32 v71, 0xbf788fa5, v20
	s_delay_alu instid0(VALU_DEP_3) | instskip(SKIP_2) | instid1(VALU_DEP_2)
	v_add_f32_e32 v19, v31, v19
	v_fmamk_f32 v31, v28, 0x3f52af12, v37
	v_fmac_f32_e32 v37, 0xbf52af12, v28
	v_add_f32_e32 v21, v31, v21
	v_fmamk_f32 v31, v87, 0xbeb58ec6, v61
	s_delay_alu instid0(VALU_DEP_3) | instskip(SKIP_2) | instid1(VALU_DEP_4)
	v_add_f32_e32 v37, v37, v69
	v_mul_f32_e32 v69, 0xbe750f2a, v85
	v_fma_f32 v61, 0xbeb58ec6, v87, -v61
	v_add_f32_e32 v31, v31, v70
	s_delay_alu instid0(VALU_DEP_2) | instskip(SKIP_1) | instid1(VALU_DEP_2)
	v_dual_fmamk_f32 v70, v87, 0xbf788fa5, v69 :: v_dual_add_f32 v23, v61, v23
	v_dual_add_f32 v61, v64, v68 :: v_dual_mul_f32 v64, 0x3f29c268, v85
	v_add_f32_e32 v68, v70, v73
	v_fmamk_f32 v70, v28, 0x3e750f2a, v71
	v_fma_f32 v69, 0xbf788fa5, v87, -v69
	s_delay_alu instid0(VALU_DEP_4) | instskip(SKIP_1) | instid1(VALU_DEP_4)
	v_fmamk_f32 v73, v87, 0xbf3f9e67, v64
	v_fma_f32 v64, 0xbf3f9e67, v87, -v64
	v_add_f32_e32 v70, v70, v76
	v_fmac_f32_e32 v71, 0xbe750f2a, v28
	v_add_f32_e32 v69, v69, v72
	v_dual_add_f32 v72, v73, v77 :: v_dual_fmamk_f32 v73, v28, 0xbf29c268, v86
	s_delay_alu instid0(VALU_DEP_3) | instskip(SKIP_1) | instid1(VALU_DEP_3)
	v_dual_mul_f32 v76, 0x3df6dbef, v20 :: v_dual_add_f32 v71, v71, v74
	v_mul_f32_e32 v74, 0x3f7e222b, v85
	v_dual_mul_f32 v20, 0x3f62ad3f, v20 :: v_dual_add_f32 v73, v73, v79
	v_dual_mul_f32 v79, 0x3eedf032, v85 :: v_dual_add_f32 v64, v64, v75
	s_delay_alu instid0(VALU_DEP_3) | instskip(SKIP_4) | instid1(VALU_DEP_4)
	v_fmamk_f32 v77, v87, 0x3df6dbef, v74
	v_fma_f32 v74, 0x3df6dbef, v87, -v74
	v_fmamk_f32 v75, v28, 0xbf7e222b, v76
	v_fmac_f32_e32 v76, 0x3f7e222b, v28
	v_fmac_f32_e32 v86, 0x3f29c268, v28
	v_add_f32_e32 v74, v74, v80
	v_sub_f32_e32 v80, v39, v30
	v_dual_add_f32 v77, v77, v82 :: v_dual_fmamk_f32 v82, v87, 0x3f62ad3f, v79
	v_add_f32_e32 v76, v76, v81
	v_add_f32_e32 v30, v39, v30
	v_fma_f32 v39, 0x3f62ad3f, v87, -v79
	v_add_f32_e32 v78, v86, v78
	v_dual_add_f32 v81, v82, v84 :: v_dual_fmamk_f32 v82, v28, 0xbeedf032, v20
	v_mul_f32_e32 v84, 0xbf7e222b, v80
	v_fmac_f32_e32 v20, 0x3eedf032, v28
	v_dual_sub_f32 v28, v65, v29 :: v_dual_add_f32 v75, v75, v83
	s_delay_alu instid0(VALU_DEP_4)
	v_add_f32_e32 v38, v82, v38
	v_dual_mul_f32 v82, 0x3f62ad3f, v30 :: v_dual_add_f32 v83, v65, v29
	v_mul_f32_e32 v65, 0x3df6dbef, v30
	v_add_f32_e32 v22, v39, v22
	v_add_f32_e32 v20, v20, v36
	v_mul_f32_e32 v36, 0xbe750f2a, v80
	v_fmamk_f32 v29, v83, 0x3df6dbef, v84
	v_fma_f32 v39, 0x3df6dbef, v83, -v84
	v_mul_f32_e32 v79, 0xbf788fa5, v30
	s_delay_alu instid0(VALU_DEP_3) | instskip(SKIP_2) | instid1(VALU_DEP_4)
	v_add_f32_e32 v19, v29, v19
	v_fmamk_f32 v29, v28, 0x3f7e222b, v65
	v_fmac_f32_e32 v65, 0xbf7e222b, v28
	v_dual_add_f32 v39, v39, v60 :: v_dual_fmamk_f32 v60, v28, 0x3e750f2a, v79
	v_fmac_f32_e32 v79, 0xbe750f2a, v28
	s_delay_alu instid0(VALU_DEP_4) | instskip(SKIP_3) | instid1(VALU_DEP_3)
	v_add_f32_e32 v21, v29, v21
	v_fmamk_f32 v29, v83, 0xbf788fa5, v36
	v_add_f32_e32 v37, v65, v37
	v_mul_f32_e32 v65, 0x3f6f5d39, v80
	v_add_f32_e32 v29, v29, v31
	v_fma_f32 v31, 0xbf788fa5, v83, -v36
	v_add_f32_e32 v36, v60, v63
	s_delay_alu instid0(VALU_DEP_4) | instskip(NEXT) | instid1(VALU_DEP_3)
	v_dual_fmamk_f32 v60, v83, 0xbeb58ec6, v65 :: v_dual_mul_f32 v63, 0xbeb58ec6, v30
	v_add_f32_e32 v23, v31, v23
	s_delay_alu instid0(VALU_DEP_2) | instskip(NEXT) | instid1(VALU_DEP_3)
	v_dual_add_f32 v31, v79, v61 :: v_dual_add_f32 v60, v60, v68
	v_fmamk_f32 v68, v28, 0xbf6f5d39, v63
	s_delay_alu instid0(VALU_DEP_1) | instskip(SKIP_3) | instid1(VALU_DEP_3)
	v_add_f32_e32 v68, v68, v70
	v_fmamk_f32 v70, v28, 0xbeedf032, v82
	v_fma_f32 v65, 0xbeb58ec6, v83, -v65
	v_fmac_f32_e32 v82, 0x3eedf032, v28
	v_dual_add_f32 v70, v70, v73 :: v_dual_mul_f32 v61, 0x3eedf032, v80
	s_delay_alu instid0(VALU_DEP_2) | instskip(NEXT) | instid1(VALU_DEP_2)
	v_dual_add_f32 v65, v65, v69 :: v_dual_add_f32 v78, v82, v78
	v_fmamk_f32 v79, v83, 0x3f62ad3f, v61
	v_fma_f32 v61, 0x3f62ad3f, v83, -v61
	s_delay_alu instid0(VALU_DEP_2) | instskip(NEXT) | instid1(VALU_DEP_2)
	v_dual_add_f32 v69, v79, v72 :: v_dual_mul_f32 v72, 0x3f116cb1, v30
	v_dual_add_f32 v61, v61, v64 :: v_dual_mul_f32 v30, 0xbf3f9e67, v30
	v_mul_f32_e32 v79, 0xbf29c268, v80
	s_delay_alu instid0(VALU_DEP_3) | instskip(SKIP_1) | instid1(VALU_DEP_2)
	v_fmamk_f32 v64, v28, 0x3f52af12, v72
	v_fmac_f32_e32 v72, 0xbf52af12, v28
	v_add_f32_e32 v64, v64, v75
	s_delay_alu instid0(VALU_DEP_2) | instskip(SKIP_2) | instid1(VALU_DEP_2)
	v_add_f32_e32 v72, v72, v76
	v_fmamk_f32 v76, v28, 0x3f29c268, v30
	v_fmac_f32_e32 v30, 0xbf29c268, v28
	v_dual_fmamk_f32 v75, v83, 0xbf3f9e67, v79 :: v_dual_add_f32 v38, v76, v38
	s_delay_alu instid0(VALU_DEP_2) | instskip(SKIP_1) | instid1(VALU_DEP_1)
	v_add_f32_e32 v20, v30, v20
	v_dual_fmac_f32 v63, 0x3f6f5d39, v28 :: v_dual_sub_f32 v28, v88, v67
	v_add_f32_e32 v63, v63, v71
	v_mul_f32_e32 v71, 0xbf52af12, v80
	s_delay_alu instid0(VALU_DEP_1) | instskip(SKIP_1) | instid1(VALU_DEP_1)
	v_fmamk_f32 v73, v83, 0x3f116cb1, v71
	v_fma_f32 v71, 0x3f116cb1, v83, -v71
	v_add_f32_e32 v71, v71, v74
	v_sub_f32_e32 v74, v35, v18
	v_add_f32_e32 v18, v35, v18
	v_fma_f32 v35, 0xbf3f9e67, v83, -v79
	s_delay_alu instid0(VALU_DEP_3) | instskip(NEXT) | instid1(VALU_DEP_3)
	v_mul_f32_e32 v80, 0xbf6f5d39, v74
	v_mul_f32_e32 v79, 0xbeb58ec6, v18
	v_dual_mul_f32 v76, 0xbf3f9e67, v18 :: v_dual_add_f32 v73, v73, v77
	s_delay_alu instid0(VALU_DEP_4) | instskip(NEXT) | instid1(VALU_DEP_3)
	v_dual_add_f32 v77, v88, v67 :: v_dual_add_f32 v22, v35, v22
	v_fmamk_f32 v30, v28, 0x3f6f5d39, v79
	v_mul_f32_e32 v35, 0x3f29c268, v74
	v_fmac_f32_e32 v79, 0xbf6f5d39, v28
	s_delay_alu instid0(VALU_DEP_4) | instskip(NEXT) | instid1(VALU_DEP_3)
	v_fmamk_f32 v67, v77, 0xbeb58ec6, v80
	v_dual_add_f32 v21, v30, v21 :: v_dual_fmamk_f32 v30, v77, 0xbf3f9e67, v35
	s_delay_alu instid0(VALU_DEP_3) | instskip(NEXT) | instid1(VALU_DEP_3)
	v_add_f32_e32 v37, v79, v37
	v_add_f32_e32 v19, v67, v19
	v_fma_f32 v67, 0xbeb58ec6, v77, -v80
	v_mul_f32_e32 v79, 0x3eedf032, v74
	v_add_f32_e32 v29, v30, v29
	v_fma_f32 v30, 0xbf3f9e67, v77, -v35
	s_delay_alu instid0(VALU_DEP_4) | instskip(SKIP_1) | instid1(VALU_DEP_3)
	v_dual_mul_f32 v80, 0x3df6dbef, v18 :: v_dual_add_f32 v39, v67, v39
	v_fmamk_f32 v67, v28, 0xbf29c268, v76
	v_dual_fmac_f32 v76, 0x3f29c268, v28 :: v_dual_add_f32 v23, v30, v23
	s_delay_alu instid0(VALU_DEP_1) | instskip(SKIP_1) | instid1(VALU_DEP_1)
	v_dual_add_f32 v30, v76, v31 :: v_dual_mul_f32 v31, 0xbf7e222b, v74
	v_fma_f32 v76, 0x3f62ad3f, v77, -v79
	v_dual_add_f32 v65, v76, v65 :: v_dual_mul_f32 v76, 0xbf788fa5, v18
	v_dual_add_f32 v35, v67, v36 :: v_dual_fmamk_f32 v36, v77, 0x3f62ad3f, v79
	v_mul_f32_e32 v67, 0x3f62ad3f, v18
	v_fmamk_f32 v79, v77, 0x3df6dbef, v31
	v_fma_f32 v31, 0x3df6dbef, v77, -v31
	v_mul_f32_e32 v18, 0x3f116cb1, v18
	v_add_f32_e32 v36, v36, v60
	v_fmamk_f32 v60, v28, 0xbeedf032, v67
	v_fmac_f32_e32 v67, 0x3eedf032, v28
	v_add_f32_e32 v31, v31, v61
	v_fmamk_f32 v61, v28, 0xbe750f2a, v76
	v_fmac_f32_e32 v76, 0x3e750f2a, v28
	s_delay_alu instid0(VALU_DEP_4) | instskip(SKIP_1) | instid1(VALU_DEP_3)
	v_dual_add_f32 v60, v60, v68 :: v_dual_add_f32 v63, v67, v63
	v_dual_add_f32 v67, v79, v69 :: v_dual_fmamk_f32 v68, v28, 0x3f7e222b, v80
	v_dual_add_f32 v72, v76, v72 :: v_dual_add_f32 v75, v75, v81
	v_mul_f32_e32 v69, 0x3e750f2a, v74
	v_mul_f32_e32 v74, 0x3f52af12, v74
	s_delay_alu instid0(VALU_DEP_4) | instskip(SKIP_1) | instid1(VALU_DEP_4)
	v_dual_add_f32 v68, v68, v70 :: v_dual_add_f32 v61, v61, v64
	v_fmac_f32_e32 v80, 0xbf7e222b, v28
	v_fmamk_f32 v70, v77, 0xbf788fa5, v69
	v_fma_f32 v69, 0xbf788fa5, v77, -v69
	v_fmamk_f32 v64, v77, 0x3f116cb1, v74
	s_delay_alu instid0(VALU_DEP_4) | instskip(NEXT) | instid1(VALU_DEP_3)
	v_add_f32_e32 v78, v80, v78
	v_dual_add_f32 v70, v70, v73 :: v_dual_add_f32 v69, v69, v71
	s_delay_alu instid0(VALU_DEP_3) | instskip(SKIP_2) | instid1(VALU_DEP_3)
	v_dual_sub_f32 v71, v34, v17 :: v_dual_add_f32 v64, v64, v75
	v_fmamk_f32 v73, v28, 0xbf52af12, v18
	v_dual_add_f32 v17, v34, v17 :: v_dual_fmac_f32 v18, 0x3f52af12, v28
	v_mul_f32_e32 v76, 0xbf29c268, v71
	v_sub_f32_e32 v28, v33, v66
	s_delay_alu instid0(VALU_DEP_3) | instskip(SKIP_2) | instid1(VALU_DEP_3)
	v_dual_add_f32 v75, v33, v66 :: v_dual_mul_f32 v66, 0xbf3f9e67, v17
	v_fma_f32 v34, 0x3f116cb1, v77, -v74
	v_add_f32_e32 v38, v73, v38
	v_dual_add_f32 v18, v18, v20 :: v_dual_fmamk_f32 v33, v75, 0xbf3f9e67, v76
	s_delay_alu instid0(VALU_DEP_4) | instskip(NEXT) | instid1(VALU_DEP_4)
	v_fmamk_f32 v20, v28, 0x3f29c268, v66
	v_add_f32_e32 v22, v34, v22
	v_fma_f32 v34, 0xbf3f9e67, v75, -v76
	s_delay_alu instid0(VALU_DEP_4)
	v_dual_fmac_f32 v66, 0xbf29c268, v28 :: v_dual_add_f32 v19, v33, v19
	v_mul_f32_e32 v33, 0x3f7e222b, v71
	v_mul_f32_e32 v73, 0x3df6dbef, v17
	v_add_f32_e32 v20, v20, v21
	v_add_f32_e32 v34, v34, v39
	;; [unrolled: 1-line block ×3, first 2 shown]
	v_fmamk_f32 v21, v75, 0x3df6dbef, v33
	v_fmamk_f32 v39, v28, 0xbf7e222b, v73
	s_delay_alu instid0(VALU_DEP_2) | instskip(SKIP_1) | instid1(VALU_DEP_3)
	v_dual_mul_f32 v66, 0xbf52af12, v71 :: v_dual_add_f32 v21, v21, v29
	v_fma_f32 v29, 0x3df6dbef, v75, -v33
	v_add_f32_e32 v33, v39, v35
	s_delay_alu instid0(VALU_DEP_2) | instskip(NEXT) | instid1(VALU_DEP_4)
	v_dual_fmac_f32 v73, 0x3f7e222b, v28 :: v_dual_add_f32 v74, v29, v23
	v_fmamk_f32 v35, v75, 0x3f116cb1, v66
	s_delay_alu instid0(VALU_DEP_2) | instskip(NEXT) | instid1(VALU_DEP_2)
	v_dual_mul_f32 v23, 0x3e750f2a, v71 :: v_dual_add_f32 v30, v73, v30
	v_add_f32_e32 v35, v35, v36
	v_mul_f32_e32 v39, 0x3f116cb1, v17
	v_fma_f32 v36, 0x3f116cb1, v75, -v66
	s_delay_alu instid0(VALU_DEP_4) | instskip(SKIP_1) | instid1(VALU_DEP_4)
	v_fmamk_f32 v66, v75, 0xbf788fa5, v23
	v_fma_f32 v23, 0xbf788fa5, v75, -v23
	v_fmamk_f32 v29, v28, 0x3f52af12, v39
	s_delay_alu instid0(VALU_DEP_4) | instskip(NEXT) | instid1(VALU_DEP_2)
	v_dual_fmac_f32 v39, 0xbf52af12, v28 :: v_dual_add_f32 v36, v36, v65
	v_dual_mul_f32 v73, 0xbf788fa5, v17 :: v_dual_add_f32 v60, v29, v60
	s_delay_alu instid0(VALU_DEP_2) | instskip(SKIP_1) | instid1(VALU_DEP_3)
	v_add_f32_e32 v39, v39, v63
	v_add_f32_e32 v63, v66, v67
	v_fmamk_f32 v29, v28, 0xbe750f2a, v73
	s_delay_alu instid0(VALU_DEP_1) | instskip(NEXT) | instid1(VALU_DEP_1)
	v_dual_mul_f32 v66, 0x3f62ad3f, v17 :: v_dual_add_f32 v67, v29, v68
	v_dual_add_f32 v68, v23, v31 :: v_dual_fmamk_f32 v23, v28, 0xbeedf032, v66
	v_mul_f32_e32 v31, 0xbf6f5d39, v71
	v_dual_mul_f32 v65, 0x3eedf032, v71 :: v_dual_fmac_f32 v66, 0x3eedf032, v28
	v_add_f32_e32 v71, v32, v27
	s_delay_alu instid0(VALU_DEP_4) | instskip(NEXT) | instid1(VALU_DEP_3)
	v_add_f32_e32 v61, v23, v61
	v_dual_fmamk_f32 v23, v75, 0xbeb58ec6, v31 :: v_dual_add_f32 v66, v66, v72
	v_add_f32_e32 v72, v26, v16
	s_delay_alu instid0(VALU_DEP_2) | instskip(SKIP_1) | instid1(VALU_DEP_1)
	v_add_f32_e32 v64, v23, v64
	v_fmamk_f32 v29, v75, 0x3f62ad3f, v65
	v_dual_mul_f32 v17, 0xbeb58ec6, v17 :: v_dual_add_f32 v70, v29, v70
	v_fma_f32 v29, 0x3f62ad3f, v75, -v65
	v_fmac_f32_e32 v73, 0x3e750f2a, v28
	s_delay_alu instid0(VALU_DEP_3) | instskip(SKIP_1) | instid1(VALU_DEP_4)
	v_fmamk_f32 v23, v28, 0x3f6f5d39, v17
	v_fmac_f32_e32 v17, 0xbf6f5d39, v28
	v_dual_mul_f32 v28, 0xbf788fa5, v72 :: v_dual_add_f32 v65, v29, v69
	v_sub_f32_e32 v69, v26, v16
	v_fma_f32 v16, 0xbeb58ec6, v75, -v31
	v_dual_sub_f32 v75, v32, v27 :: v_dual_mul_f32 v32, 0xbf3f9e67, v72
	v_add_f32_e32 v73, v73, v78
	s_delay_alu instid0(VALU_DEP_4) | instskip(NEXT) | instid1(VALU_DEP_4)
	v_mul_f32_e32 v29, 0xbe750f2a, v69
	v_add_f32_e32 v77, v16, v22
	v_add_f32_e32 v78, v17, v18
	v_fmamk_f32 v16, v75, 0x3e750f2a, v28
	v_mul_f32_e32 v17, 0x3eedf032, v69
	v_fmamk_f32 v26, v71, 0xbf788fa5, v29
	v_fma_f32 v18, 0xbf788fa5, v71, -v29
	s_delay_alu instid0(VALU_DEP_4) | instskip(NEXT) | instid1(VALU_DEP_4)
	v_dual_fmac_f32 v28, 0xbe750f2a, v75 :: v_dual_add_f32 v27, v16, v20
	v_fmamk_f32 v16, v71, 0x3f62ad3f, v17
	s_delay_alu instid0(VALU_DEP_4) | instskip(SKIP_1) | instid1(VALU_DEP_4)
	v_dual_add_f32 v26, v26, v19 :: v_dual_mul_f32 v19, 0x3f62ad3f, v72
	v_dual_mul_f32 v31, 0xbf29c268, v69 :: v_dual_add_f32 v76, v23, v38
	v_dual_add_f32 v22, v18, v34 :: v_dual_add_f32 v23, v28, v37
	s_delay_alu instid0(VALU_DEP_3)
	v_fmamk_f32 v18, v75, 0xbeedf032, v19
	v_add_f32_e32 v28, v16, v21
	v_fma_f32 v16, 0x3f62ad3f, v71, -v17
	v_fmac_f32_e32 v19, 0x3eedf032, v75
	v_fmamk_f32 v17, v71, 0xbf3f9e67, v31
	v_mul_f32_e32 v37, 0xbeb58ec6, v72
	v_add_f32_e32 v29, v18, v33
	v_fma_f32 v18, 0xbf3f9e67, v71, -v31
	s_delay_alu instid0(VALU_DEP_4) | instskip(SKIP_4) | instid1(VALU_DEP_4)
	v_dual_add_f32 v21, v19, v30 :: v_dual_add_f32 v30, v17, v35
	v_fmamk_f32 v17, v75, 0x3f29c268, v32
	v_fmac_f32_e32 v32, 0xbf29c268, v75
	v_mul_f32_e32 v34, 0x3f116cb1, v72
	v_mul_f32_e32 v35, 0xbf6f5d39, v69
	v_dual_fmamk_f32 v38, v75, 0x3f6f5d39, v37 :: v_dual_add_f32 v31, v17, v60
	v_mul_f32_e32 v60, 0x3f7e222b, v69
	v_add_f32_e32 v20, v16, v74
	v_dual_add_f32 v18, v18, v36 :: v_dual_add_f32 v19, v32, v39
	v_fmamk_f32 v17, v75, 0xbf52af12, v34
	v_fmac_f32_e32 v34, 0x3f52af12, v75
	v_fmamk_f32 v36, v71, 0xbeb58ec6, v35
	v_fma_f32 v39, 0xbeb58ec6, v71, -v35
	v_dual_add_f32 v35, v38, v61 :: v_dual_fmamk_f32 v38, v71, 0x3df6dbef, v60
	v_mul_f32_e32 v16, 0x3f52af12, v69
	v_fma_f32 v60, 0x3df6dbef, v71, -v60
	s_delay_alu instid0(VALU_DEP_2) | instskip(SKIP_2) | instid1(VALU_DEP_4)
	v_dual_add_f32 v38, v38, v64 :: v_dual_fmamk_f32 v33, v71, 0x3f116cb1, v16
	v_add_nc_u32_e32 v64, 0x1b00, v101
	v_fma_f32 v16, 0x3f116cb1, v71, -v16
	v_dual_fmac_f32 v37, 0xbf6f5d39, v75 :: v_dual_add_f32 v60, v60, v77
	s_delay_alu instid0(VALU_DEP_4) | instskip(SKIP_3) | instid1(VALU_DEP_4)
	v_dual_add_f32 v32, v33, v63 :: v_dual_mul_f32 v63, 0x3df6dbef, v72
	v_add_f32_e32 v33, v17, v67
	v_dual_add_f32 v17, v34, v73 :: v_dual_add_f32 v34, v36, v70
	v_add_f32_e32 v36, v39, v65
	v_fmamk_f32 v39, v75, 0xbf7e222b, v63
	v_fmac_f32_e32 v63, 0x3f7e222b, v75
	v_dual_add_f32 v16, v16, v68 :: v_dual_add_nc_u32 v65, 0xd00, v101
	v_add_f32_e32 v37, v37, v66
	s_delay_alu instid0(VALU_DEP_4) | instskip(NEXT) | instid1(VALU_DEP_4)
	v_add_f32_e32 v39, v39, v76
	v_add_f32_e32 v61, v63, v78
	v_add_nc_u32_e32 v63, 0x2900, v101
	ds_store_2addr_b64 v103, v[24:25], v[26:27] offset1:17
	ds_store_2addr_b64 v103, v[28:29], v[30:31] offset0:34 offset1:51
	ds_store_2addr_b64 v103, v[32:33], v[34:35] offset0:68 offset1:85
	;; [unrolled: 1-line block ×5, first 2 shown]
	ds_store_b64 v103, v[22:23] offset:1632
	global_wb scope:SCOPE_SE
	s_wait_dscnt 0x0
	s_barrier_signal -1
	s_barrier_wait -1
	global_inv scope:SCOPE_SE
	ds_load_2addr_b64 v[24:27], v101 offset1:221
	ds_load_2addr_b64 v[36:39], v65 offset0:26 offset1:247
	ds_load_2addr_b64 v[32:35], v64 offset0:20 offset1:241
	;; [unrolled: 1-line block ×3, first 2 shown]
	ds_load_b64 v[60:61], v101 offset:14144
	s_and_saveexec_b32 s1, s0
	s_cbranch_execz .LBB0_19
; %bb.18:
	v_add_nc_u32_e32 v16, 0x2000, v101
	v_add_nc_u32_e32 v20, 0x1200, v101
	ds_load_2addr_b64 v[56:59], v62 offset0:7 offset1:228
	ds_load_2addr_b64 v[66:69], v16 offset0:13 offset1:234
	s_wait_dscnt 0x0
	v_dual_mov_b32 v97, v66 :: v_dual_add_nc_u32 v16, 0x400, v101
	ds_load_b64 v[93:94], v101 offset:15368
	ds_load_2addr_b64 v[16:19], v16 offset0:25 offset1:246
	ds_load_2addr_b64 v[20:23], v20 offset0:19 offset1:240
	v_dual_mov_b32 v95, v68 :: v_dual_mov_b32 v96, v69
	v_mov_b32_e32 v98, v67
.LBB0_19:
	s_wait_alu 0xfffe
	s_or_b32 exec_lo, exec_lo, s1
	s_wait_dscnt 0x4
	v_mul_f32_e32 v62, v53, v27
	s_wait_dscnt 0x3
	v_dual_mul_f32 v53, v53, v26 :: v_dual_mul_f32 v66, v55, v37
	v_mul_f32_e32 v55, v55, v36
	s_delay_alu instid0(VALU_DEP_3) | instskip(SKIP_1) | instid1(VALU_DEP_4)
	v_dual_mul_f32 v67, v49, v39 :: v_dual_fmac_f32 v62, v52, v26
	v_mul_f32_e32 v26, v49, v38
	v_fmac_f32_e32 v66, v54, v36
	s_delay_alu instid0(VALU_DEP_4) | instskip(NEXT) | instid1(VALU_DEP_4)
	v_fma_f32 v36, v54, v37, -v55
	v_fmac_f32_e32 v67, v48, v38
	s_wait_dscnt 0x2
	v_mul_f32_e32 v37, v51, v33
	v_fma_f32 v26, v48, v39, -v26
	v_dual_mul_f32 v38, v51, v32 :: v_dual_mul_f32 v39, v45, v35
	s_wait_dscnt 0x1
	v_dual_mul_f32 v45, v45, v34 :: v_dual_mul_f32 v48, v47, v29
	s_wait_dscnt 0x0
	v_dual_fmac_f32 v37, v50, v32 :: v_dual_mul_f32 v32, v43, v61
	v_fmac_f32_e32 v39, v44, v34
	s_delay_alu instid0(VALU_DEP_3) | instskip(SKIP_4) | instid1(VALU_DEP_3)
	v_fma_f32 v44, v44, v35, -v45
	v_fmac_f32_e32 v48, v46, v28
	v_dual_mul_f32 v28, v47, v28 :: v_dual_mul_f32 v35, v41, v30
	v_fma_f32 v38, v50, v33, -v38
	v_dual_mul_f32 v33, v43, v60 :: v_dual_mul_f32 v34, v41, v31
	v_fma_f32 v28, v46, v29, -v28
	s_delay_alu instid0(VALU_DEP_4)
	v_fma_f32 v29, v40, v31, -v35
	v_fmac_f32_e32 v32, v42, v60
	v_fma_f32 v27, v52, v27, -v53
	v_fma_f32 v33, v42, v61, -v33
	v_sub_f32_e32 v51, v37, v39
	v_sub_f32_e32 v43, v36, v29
	v_dual_fmac_f32 v34, v40, v30 :: v_dual_sub_f32 v31, v62, v32
	s_delay_alu instid0(VALU_DEP_4) | instskip(SKIP_1) | instid1(VALU_DEP_3)
	v_dual_sub_f32 v40, v27, v33 :: v_dual_add_f32 v41, v62, v32
	v_add_f32_e32 v36, v36, v29
	v_dual_sub_f32 v42, v66, v34 :: v_dual_mul_f32 v45, 0x3f248dbb, v31
	s_delay_alu instid0(VALU_DEP_3) | instskip(SKIP_2) | instid1(VALU_DEP_3)
	v_mul_f32_e32 v30, 0x3f248dbb, v40
	v_sub_f32_e32 v47, v67, v48
	v_dual_add_f32 v46, v27, v33 :: v_dual_sub_f32 v49, v26, v28
	v_dual_fmac_f32 v45, 0x3f7c1c5c, v42 :: v_dual_fmac_f32 v30, 0x3f7c1c5c, v43
	v_add_f32_e32 v50, v66, v34
	s_delay_alu instid0(VALU_DEP_3) | instskip(NEXT) | instid1(VALU_DEP_3)
	v_dual_fmamk_f32 v29, v46, 0x3f441b7d, v25 :: v_dual_add_f32 v54, v37, v39
	v_dual_fmac_f32 v45, 0x3f5db3d7, v47 :: v_dual_sub_f32 v52, v38, v44
	v_dual_add_f32 v48, v67, v48 :: v_dual_fmamk_f32 v27, v41, 0x3f441b7d, v24
	v_dual_fmac_f32 v30, 0x3f5db3d7, v49 :: v_dual_add_f32 v53, v26, v28
	s_delay_alu instid0(VALU_DEP_3) | instskip(NEXT) | instid1(VALU_DEP_4)
	v_fmac_f32_e32 v45, 0x3eaf1d44, v51
	v_dual_mul_f32 v33, 0xbf248dbb, v51 :: v_dual_mul_f32 v32, 0xbf248dbb, v52
	v_dual_add_f32 v67, v36, v46 :: v_dual_add_f32 v62, v50, v41
	v_add_f32_e32 v35, v51, v31
	v_mul_f32_e32 v51, 0x3f7c1c5c, v51
	s_delay_alu instid0(VALU_DEP_4) | instskip(SKIP_2) | instid1(VALU_DEP_3)
	v_dual_fmac_f32 v33, 0x3f7c1c5c, v31 :: v_dual_fmac_f32 v32, 0x3f7c1c5c, v40
	v_add_f32_e32 v55, v38, v44
	v_add_f32_e32 v68, v54, v62
	v_fmac_f32_e32 v32, 0xbf5db3d7, v49
	s_delay_alu instid0(VALU_DEP_3) | instskip(SKIP_2) | instid1(VALU_DEP_4)
	v_fmamk_f32 v34, v55, 0x3f441b7d, v25
	v_fmac_f32_e32 v29, 0x3e31d0d4, v36
	v_add_f32_e32 v69, v55, v67
	v_fmac_f32_e32 v32, 0x3eaf1d44, v43
	s_delay_alu instid0(VALU_DEP_4) | instskip(NEXT) | instid1(VALU_DEP_4)
	v_fmac_f32_e32 v34, 0x3e31d0d4, v46
	v_dual_fmac_f32 v30, 0x3eaf1d44, v52 :: v_dual_fmac_f32 v29, -0.5, v53
	s_delay_alu instid0(VALU_DEP_1) | instskip(SKIP_2) | instid1(VALU_DEP_3)
	v_dual_fmac_f32 v34, -0.5, v53 :: v_dual_fmac_f32 v29, 0xbf708fb2, v55
	v_fmamk_f32 v28, v54, 0x3f441b7d, v24
	v_fmac_f32_e32 v27, 0x3e31d0d4, v50
	v_fmac_f32_e32 v34, 0xbf708fb2, v36
	s_delay_alu instid0(VALU_DEP_2) | instskip(NEXT) | instid1(VALU_DEP_1)
	v_dual_fmac_f32 v28, 0x3e31d0d4, v41 :: v_dual_fmac_f32 v27, -0.5, v48
	v_dual_fmac_f32 v28, -0.5, v48 :: v_dual_fmac_f32 v27, 0xbf708fb2, v54
	v_fmac_f32_e32 v33, 0xbf5db3d7, v47
	s_delay_alu instid0(VALU_DEP_2) | instskip(NEXT) | instid1(VALU_DEP_3)
	v_fmac_f32_e32 v28, 0xbf708fb2, v50
	v_sub_f32_e32 v26, v27, v30
	s_delay_alu instid0(VALU_DEP_3) | instskip(NEXT) | instid1(VALU_DEP_3)
	v_fmac_f32_e32 v33, 0x3eaf1d44, v42
	v_dual_add_f32 v27, v45, v29 :: v_dual_sub_f32 v28, v28, v32
	s_delay_alu instid0(VALU_DEP_3) | instskip(NEXT) | instid1(VALU_DEP_3)
	v_fma_f32 v30, 2.0, v30, v26
	v_dual_add_f32 v29, v33, v34 :: v_dual_add_f32 v34, v52, v40
	v_dual_sub_f32 v60, v35, v42 :: v_dual_add_f32 v35, v53, v25
	v_fma_f32 v42, 0xbf248dbb, v42, -v51
	v_fmamk_f32 v51, v36, 0x3f441b7d, v25
	s_delay_alu instid0(VALU_DEP_3) | instskip(NEXT) | instid1(VALU_DEP_4)
	v_dual_sub_f32 v61, v34, v43 :: v_dual_mul_f32 v66, 0x3f5db3d7, v60
	v_dual_add_f32 v34, v48, v24 :: v_dual_fmac_f32 v35, -0.5, v69
	s_delay_alu instid0(VALU_DEP_4) | instskip(NEXT) | instid1(VALU_DEP_4)
	v_fmac_f32_e32 v42, 0x3f5db3d7, v47
	v_fmac_f32_e32 v51, 0x3e31d0d4, v55
	v_mul_f32_e32 v52, 0x3f7c1c5c, v52
	v_fmamk_f32 v50, v50, 0x3f441b7d, v24
	v_fmac_f32_e32 v35, 0x3f5db3d7, v60
	v_dual_fmac_f32 v42, 0x3eaf1d44, v31 :: v_dual_add_f32 v31, v48, v62
	v_dual_fmac_f32 v51, -0.5, v53 :: v_dual_add_f32 v36, v53, v67
	v_mul_f32_e32 v70, 0x3f5db3d7, v61
	v_fma_f32 v43, 0xbf248dbb, v43, -v52
	s_delay_alu instid0(VALU_DEP_4) | instskip(NEXT) | instid1(VALU_DEP_4)
	v_dual_add_f32 v31, v37, v31 :: v_dual_fmac_f32 v34, -0.5, v68
	v_dual_fmac_f32 v51, 0xbf708fb2, v46 :: v_dual_add_f32 v36, v38, v36
	v_fmac_f32_e32 v50, 0x3e31d0d4, v54
	s_delay_alu instid0(VALU_DEP_4) | instskip(NEXT) | instid1(VALU_DEP_4)
	v_fmac_f32_e32 v43, 0x3f5db3d7, v49
	v_dual_fmac_f32 v34, 0xbf5db3d7, v61 :: v_dual_add_f32 v31, v39, v31
	s_delay_alu instid0(VALU_DEP_4) | instskip(NEXT) | instid1(VALU_DEP_4)
	v_add_f32_e32 v39, v44, v36
	v_fmac_f32_e32 v50, -0.5, v48
	s_delay_alu instid0(VALU_DEP_4) | instskip(NEXT) | instid1(VALU_DEP_4)
	v_fmac_f32_e32 v43, 0x3eaf1d44, v40
	v_dual_add_f32 v37, v42, v51 :: v_dual_add_f32 v24, v31, v24
	s_delay_alu instid0(VALU_DEP_4) | instskip(NEXT) | instid1(VALU_DEP_4)
	v_add_f32_e32 v25, v39, v25
	v_fmac_f32_e32 v50, 0xbf708fb2, v41
	v_fma_f32 v32, 2.0, v32, v28
	s_delay_alu instid0(VALU_DEP_4)
	v_fma_f32 v41, -2.0, v42, v37
	v_fma_f32 v33, -2.0, v33, v29
	v_fma_f32 v38, 2.0, v70, v34
	v_sub_f32_e32 v36, v50, v43
	v_fma_f32 v39, -2.0, v66, v35
	v_fma_f32 v31, -2.0, v45, v27
	s_delay_alu instid0(VALU_DEP_3)
	v_fma_f32 v40, 2.0, v43, v36
	ds_store_2addr_b64 v101, v[24:25], v[26:27] offset1:221
	ds_store_2addr_b64 v65, v[28:29], v[34:35] offset0:26 offset1:247
	ds_store_2addr_b64 v64, v[36:37], v[40:41] offset0:20 offset1:241
	;; [unrolled: 1-line block ×3, first 2 shown]
	ds_store_b64 v101, v[30:31] offset:14144
	s_and_saveexec_b32 s1, s0
	s_cbranch_execz .LBB0_21
; %bb.20:
	v_dual_mul_f32 v24, v9, v23 :: v_dual_mul_f32 v25, v15, v57
	v_dual_mul_f32 v26, v1, v19 :: v_dual_mul_f32 v27, v7, v94
	;; [unrolled: 1-line block ×3, first 2 shown]
	v_mul_f32_e32 v32, v13, v96
	s_delay_alu instid0(VALU_DEP_4) | instskip(NEXT) | instid1(VALU_DEP_4)
	v_dual_mul_f32 v28, v3, v21 :: v_dual_fmac_f32 v25, v14, v56
	v_dual_fmac_f32 v24, v8, v22 :: v_dual_fmac_f32 v27, v6, v93
	v_dual_fmac_f32 v26, v0, v18 :: v_dual_mul_f32 v3, v3, v20
	v_fmac_f32_e32 v31, v10, v97
	v_dual_mul_f32 v5, v5, v58 :: v_dual_fmac_f32 v32, v12, v95
	s_delay_alu instid0(VALU_DEP_4) | instskip(SKIP_1) | instid1(VALU_DEP_3)
	v_dual_fmac_f32 v28, v2, v20 :: v_dual_sub_f32 v29, v24, v25
	v_fmac_f32_e32 v30, v4, v58
	v_fma_f32 v4, v4, v59, -v5
	v_fma_f32 v2, v2, v21, -v3
	v_mul_f32_e32 v3, v13, v95
	v_mul_f32_e32 v5, v11, v97
	v_sub_f32_e32 v13, v31, v32
	v_dual_mul_f32 v1, v1, v18 :: v_dual_sub_f32 v18, v26, v27
	v_dual_mul_f32 v7, v7, v93 :: v_dual_add_f32 v20, v4, v2
	v_fma_f32 v12, v12, v96, -v3
	v_fma_f32 v10, v10, v98, -v5
	v_mul_f32_e32 v3, v15, v56
	s_delay_alu instid0(VALU_DEP_4) | instskip(SKIP_4) | instid1(VALU_DEP_4)
	v_fma_f32 v6, v6, v94, -v7
	v_fma_f32 v0, v0, v19, -v1
	v_mul_f32_e32 v5, v9, v22
	v_mul_f32_e32 v9, 0x3f7c1c5c, v13
	v_fma_f32 v3, v14, v57, -v3
	v_dual_add_f32 v33, v32, v31 :: v_dual_add_f32 v22, v6, v0
	s_delay_alu instid0(VALU_DEP_4) | instskip(SKIP_2) | instid1(VALU_DEP_3)
	v_fma_f32 v5, v8, v23, -v5
	v_dual_sub_f32 v11, v28, v30 :: v_dual_add_f32 v28, v30, v28
	v_fmamk_f32 v15, v20, 0x3f441b7d, v17
	v_dual_sub_f32 v23, v2, v4 :: v_dual_add_f32 v14, v3, v5
	s_delay_alu instid0(VALU_DEP_3) | instskip(NEXT) | instid1(VALU_DEP_4)
	v_fma_f32 v8, 0xbf248dbb, v11, -v9
	v_fmamk_f32 v4, v28, 0x3f441b7d, v16
	v_dual_add_f32 v21, v12, v10 :: v_dual_sub_f32 v30, v5, v3
	s_delay_alu instid0(VALU_DEP_3) | instskip(NEXT) | instid1(VALU_DEP_3)
	v_dual_sub_f32 v19, v10, v12 :: v_dual_fmac_f32 v8, 0x3f5db3d7, v29
	v_fmac_f32_e32 v4, 0x3e31d0d4, v33
	s_delay_alu instid0(VALU_DEP_3) | instskip(NEXT) | instid1(VALU_DEP_3)
	v_dual_fmac_f32 v15, 0x3e31d0d4, v21 :: v_dual_add_f32 v26, v27, v26
	v_dual_add_f32 v24, v25, v24 :: v_dual_mul_f32 v1, 0x3f7c1c5c, v19
	s_delay_alu instid0(VALU_DEP_4) | instskip(NEXT) | instid1(VALU_DEP_2)
	v_fmac_f32_e32 v8, 0x3eaf1d44, v18
	v_dual_fmac_f32 v15, -0.5, v14 :: v_dual_fmac_f32 v4, -0.5, v24
	s_delay_alu instid0(VALU_DEP_3) | instskip(NEXT) | instid1(VALU_DEP_2)
	v_fma_f32 v2, 0xbf248dbb, v23, -v1
	v_fmac_f32_e32 v15, 0xbf708fb2, v22
	s_delay_alu instid0(VALU_DEP_3) | instskip(NEXT) | instid1(VALU_DEP_3)
	v_fmac_f32_e32 v4, 0xbf708fb2, v26
	v_fmac_f32_e32 v2, 0x3f5db3d7, v30
	v_mul_f32_e32 v27, 0xbf248dbb, v19
	s_delay_alu instid0(VALU_DEP_4) | instskip(SKIP_2) | instid1(VALU_DEP_2)
	v_add_f32_e32 v1, v8, v15
	v_sub_f32_e32 v15, v0, v6
	v_add_f32_e32 v0, v20, v22
	v_dual_add_f32 v25, v28, v26 :: v_dual_fmac_f32 v2, 0x3eaf1d44, v15
	s_delay_alu instid0(VALU_DEP_1) | instskip(SKIP_3) | instid1(VALU_DEP_4)
	v_dual_add_f32 v6, v14, v0 :: v_dual_add_f32 v7, v24, v25
	v_add_f32_e32 v0, v21, v0
	v_fma_f32 v3, -2.0, v8, v1
	v_dual_add_f32 v8, v13, v18 :: v_dual_add_f32 v5, v14, v17
	v_dual_add_f32 v6, v10, v6 :: v_dual_add_f32 v7, v31, v7
	v_add_f32_e32 v10, v33, v25
	s_delay_alu instid0(VALU_DEP_3) | instskip(SKIP_1) | instid1(VALU_DEP_4)
	v_dual_sub_f32 v8, v8, v11 :: v_dual_fmac_f32 v5, -0.5, v0
	v_sub_f32_e32 v0, v4, v2
	v_add_f32_e32 v4, v12, v6
	s_delay_alu instid0(VALU_DEP_3) | instskip(NEXT) | instid1(VALU_DEP_4)
	v_dual_add_f32 v6, v32, v7 :: v_dual_mul_f32 v9, 0x3f5db3d7, v8
	v_fmac_f32_e32 v5, 0x3f5db3d7, v8
	v_mul_f32_e32 v12, 0xbf248dbb, v13
	v_dual_add_f32 v8, v19, v15 :: v_dual_fmamk_f32 v25, v21, 0x3f441b7d, v17
	s_delay_alu instid0(VALU_DEP_4) | instskip(SKIP_1) | instid1(VALU_DEP_4)
	v_dual_add_f32 v7, v17, v4 :: v_dual_add_f32 v6, v16, v6
	v_add_f32_e32 v4, v24, v16
	v_dual_fmac_f32 v12, 0x3f7c1c5c, v18 :: v_dual_fmac_f32 v27, 0x3f7c1c5c, v15
	s_delay_alu instid0(VALU_DEP_4) | instskip(SKIP_2) | instid1(VALU_DEP_4)
	v_fmac_f32_e32 v25, 0x3e31d0d4, v22
	v_mul_f32_e32 v18, 0x3f248dbb, v18
	v_dual_fmac_f32 v17, 0x3f441b7d, v22 :: v_dual_sub_f32 v8, v8, v23
	v_dual_fmac_f32 v12, 0xbf5db3d7, v29 :: v_dual_fmac_f32 v27, 0xbf5db3d7, v30
	s_delay_alu instid0(VALU_DEP_4) | instskip(NEXT) | instid1(VALU_DEP_3)
	v_fmac_f32_e32 v25, -0.5, v14
	v_dual_fmac_f32 v4, -0.5, v10 :: v_dual_mul_f32 v31, 0x3f5db3d7, v8
	v_fmac_f32_e32 v18, 0x3f7c1c5c, v11
	v_fmac_f32_e32 v17, 0x3e31d0d4, v20
	v_fma_f32 v2, 2.0, v2, v0
	s_delay_alu instid0(VALU_DEP_4) | instskip(SKIP_1) | instid1(VALU_DEP_4)
	v_fmac_f32_e32 v4, 0xbf5db3d7, v8
	v_fma_f32 v9, -2.0, v9, v5
	v_dual_fmac_f32 v18, 0x3f5db3d7, v29 :: v_dual_fmac_f32 v17, -0.5, v14
	v_fmac_f32_e32 v27, 0x3eaf1d44, v23
	v_add_nc_u32_e32 v22, 0x2e00, v101
	s_delay_alu instid0(VALU_DEP_3) | instskip(NEXT) | instid1(VALU_DEP_4)
	v_fmac_f32_e32 v18, 0x3eaf1d44, v13
	v_fmac_f32_e32 v17, 0xbf708fb2, v21
	v_fmac_f32_e32 v12, 0x3eaf1d44, v11
	v_fmac_f32_e32 v25, 0xbf708fb2, v20
	v_mul_f32_e32 v20, 0x3f248dbb, v15
	v_add_nc_u32_e32 v21, 0x2000, v101
	v_dual_add_f32 v13, v18, v17 :: v_dual_fmamk_f32 v8, v33, 0x3f441b7d, v16
	s_delay_alu instid0(VALU_DEP_4) | instskip(NEXT) | instid1(VALU_DEP_4)
	v_dual_add_f32 v11, v12, v25 :: v_dual_fmac_f32 v16, 0x3f441b7d, v26
	v_fmac_f32_e32 v20, 0x3f7c1c5c, v23
	s_delay_alu instid0(VALU_DEP_3) | instskip(NEXT) | instid1(VALU_DEP_4)
	v_fma_f32 v17, -2.0, v18, v13
	v_fmac_f32_e32 v8, 0x3e31d0d4, v26
	s_delay_alu instid0(VALU_DEP_4) | instskip(SKIP_4) | instid1(VALU_DEP_4)
	v_fma_f32 v15, -2.0, v12, v11
	v_fmac_f32_e32 v16, 0x3e31d0d4, v28
	v_fmac_f32_e32 v20, 0x3f5db3d7, v30
	v_add_nc_u32_e32 v18, 0x400, v101
	v_fmac_f32_e32 v8, -0.5, v24
	v_fmac_f32_e32 v16, -0.5, v24
	s_delay_alu instid0(VALU_DEP_4) | instskip(SKIP_1) | instid1(VALU_DEP_4)
	v_fmac_f32_e32 v20, 0x3eaf1d44, v19
	v_add_nc_u32_e32 v19, 0x1200, v101
	v_fmac_f32_e32 v8, 0xbf708fb2, v28
	s_delay_alu instid0(VALU_DEP_4) | instskip(NEXT) | instid1(VALU_DEP_2)
	v_fmac_f32_e32 v16, 0xbf708fb2, v33
	v_sub_f32_e32 v10, v8, v27
	v_fma_f32 v8, 2.0, v31, v4
	s_delay_alu instid0(VALU_DEP_3) | instskip(NEXT) | instid1(VALU_DEP_3)
	v_sub_f32_e32 v12, v16, v20
	v_fma_f32 v14, 2.0, v27, v10
	s_delay_alu instid0(VALU_DEP_2)
	v_fma_f32 v16, 2.0, v20, v12
	ds_store_2addr_b64 v18, v[6:7], v[12:13] offset0:25 offset1:246
	ds_store_2addr_b64 v19, v[10:11], v[4:5] offset0:19 offset1:240
	;; [unrolled: 1-line block ×4, first 2 shown]
	ds_store_b64 v101, v[16:17] offset:15368
.LBB0_21:
	s_wait_alu 0xfffe
	s_or_b32 exec_lo, exec_lo, s1
	global_wb scope:SCOPE_SE
	s_wait_dscnt 0x0
	s_barrier_signal -1
	s_barrier_wait -1
	global_inv scope:SCOPE_SE
	s_and_b32 exec_lo, exec_lo, vcc_lo
	s_cbranch_execz .LBB0_23
; %bb.22:
	global_load_b64 v[0:1], v101, s[8:9]
	ds_load_b64 v[2:3], v101
	v_mad_co_u64_u32 v[6:7], null, s4, v102, 0
	s_mov_b32 s0, 0x10798010
	s_mov_b32 s1, 0x3f407980
	s_mul_u64 s[2:3], s[4:5], 0x3a8
	s_wait_loadcnt_dscnt 0x0
	v_mul_f32_e32 v4, v3, v1
	v_mul_f32_e32 v1, v2, v1
	s_delay_alu instid0(VALU_DEP_2) | instskip(NEXT) | instid1(VALU_DEP_2)
	v_fmac_f32_e32 v4, v2, v0
	v_fma_f32 v2, v0, v3, -v1
	s_delay_alu instid0(VALU_DEP_2) | instskip(NEXT) | instid1(VALU_DEP_2)
	v_cvt_f64_f32_e32 v[0:1], v4
	v_cvt_f64_f32_e32 v[2:3], v2
	v_mad_co_u64_u32 v[4:5], null, s6, v92, 0
	s_wait_alu 0xfffe
	s_delay_alu instid0(VALU_DEP_3) | instskip(NEXT) | instid1(VALU_DEP_3)
	v_mul_f64_e32 v[0:1], s[0:1], v[0:1]
	v_mul_f64_e32 v[2:3], s[0:1], v[2:3]
	s_delay_alu instid0(VALU_DEP_2) | instskip(NEXT) | instid1(VALU_DEP_2)
	v_cvt_f32_f64_e32 v0, v[0:1]
	v_cvt_f32_f64_e32 v1, v[2:3]
	v_dual_mov_b32 v3, v7 :: v_dual_mov_b32 v2, v5
	s_delay_alu instid0(VALU_DEP_1) | instskip(SKIP_1) | instid1(VALU_DEP_2)
	v_mad_co_u64_u32 v[7:8], null, s7, v92, v[2:3]
	v_mad_co_u64_u32 v[2:3], null, s5, v102, v[3:4]
	v_mov_b32_e32 v5, v7
	s_delay_alu instid0(VALU_DEP_2) | instskip(NEXT) | instid1(VALU_DEP_2)
	v_mov_b32_e32 v7, v2
	v_lshlrev_b64_e32 v[2:3], 3, v[4:5]
	s_delay_alu instid0(VALU_DEP_2) | instskip(NEXT) | instid1(VALU_DEP_2)
	v_lshlrev_b64_e32 v[4:5], 3, v[6:7]
	v_add_co_u32 v2, vcc_lo, s12, v2
	s_delay_alu instid0(VALU_DEP_3) | instskip(NEXT) | instid1(VALU_DEP_2)
	v_add_co_ci_u32_e32 v3, vcc_lo, s13, v3, vcc_lo
	v_add_co_u32 v4, vcc_lo, v2, v4
	s_wait_alu 0xfffd
	s_delay_alu instid0(VALU_DEP_2)
	v_add_co_ci_u32_e32 v5, vcc_lo, v3, v5, vcc_lo
	global_store_b64 v[4:5], v[0:1], off
	global_load_b64 v[6:7], v101, s[8:9] offset:936
	ds_load_2addr_b64 v[0:3], v101 offset0:117 offset1:234
	v_add_co_u32 v4, vcc_lo, v4, s2
	s_wait_alu 0xfffd
	v_add_co_ci_u32_e32 v5, vcc_lo, s3, v5, vcc_lo
	s_wait_loadcnt_dscnt 0x0
	v_mul_f32_e32 v8, v1, v7
	v_mul_f32_e32 v7, v0, v7
	s_delay_alu instid0(VALU_DEP_2) | instskip(NEXT) | instid1(VALU_DEP_2)
	v_fmac_f32_e32 v8, v0, v6
	v_fma_f32 v6, v6, v1, -v7
	s_delay_alu instid0(VALU_DEP_2) | instskip(NEXT) | instid1(VALU_DEP_2)
	v_cvt_f64_f32_e32 v[0:1], v8
	v_cvt_f64_f32_e32 v[6:7], v6
	s_delay_alu instid0(VALU_DEP_2) | instskip(NEXT) | instid1(VALU_DEP_2)
	v_mul_f64_e32 v[0:1], s[0:1], v[0:1]
	v_mul_f64_e32 v[6:7], s[0:1], v[6:7]
	s_delay_alu instid0(VALU_DEP_2) | instskip(NEXT) | instid1(VALU_DEP_2)
	v_cvt_f32_f64_e32 v0, v[0:1]
	v_cvt_f32_f64_e32 v1, v[6:7]
	global_store_b64 v[4:5], v[0:1], off
	global_load_b64 v[0:1], v101, s[8:9] offset:1872
	v_add_co_u32 v4, vcc_lo, v4, s2
	s_wait_alu 0xfffd
	v_add_co_ci_u32_e32 v5, vcc_lo, s3, v5, vcc_lo
	s_wait_loadcnt 0x0
	v_mul_f32_e32 v6, v3, v1
	v_mul_f32_e32 v1, v2, v1
	s_delay_alu instid0(VALU_DEP_2) | instskip(NEXT) | instid1(VALU_DEP_2)
	v_fmac_f32_e32 v6, v2, v0
	v_fma_f32 v2, v0, v3, -v1
	s_delay_alu instid0(VALU_DEP_2) | instskip(NEXT) | instid1(VALU_DEP_2)
	v_cvt_f64_f32_e32 v[0:1], v6
	v_cvt_f64_f32_e32 v[2:3], v2
	s_delay_alu instid0(VALU_DEP_2) | instskip(NEXT) | instid1(VALU_DEP_2)
	v_mul_f64_e32 v[0:1], s[0:1], v[0:1]
	v_mul_f64_e32 v[2:3], s[0:1], v[2:3]
	s_delay_alu instid0(VALU_DEP_2) | instskip(NEXT) | instid1(VALU_DEP_2)
	v_cvt_f32_f64_e32 v0, v[0:1]
	v_cvt_f32_f64_e32 v1, v[2:3]
	global_store_b64 v[4:5], v[0:1], off
	global_load_b64 v[6:7], v101, s[8:9] offset:2808
	v_add_nc_u32_e32 v0, 0x800, v101
	v_add_co_u32 v4, vcc_lo, v4, s2
	s_wait_alu 0xfffd
	v_add_co_ci_u32_e32 v5, vcc_lo, s3, v5, vcc_lo
	ds_load_2addr_b64 v[0:3], v0 offset0:95 offset1:212
	s_wait_loadcnt_dscnt 0x0
	v_mul_f32_e32 v8, v1, v7
	v_mul_f32_e32 v7, v0, v7
	s_delay_alu instid0(VALU_DEP_2) | instskip(NEXT) | instid1(VALU_DEP_2)
	v_fmac_f32_e32 v8, v0, v6
	v_fma_f32 v6, v6, v1, -v7
	s_delay_alu instid0(VALU_DEP_2) | instskip(NEXT) | instid1(VALU_DEP_2)
	v_cvt_f64_f32_e32 v[0:1], v8
	v_cvt_f64_f32_e32 v[6:7], v6
	s_delay_alu instid0(VALU_DEP_2) | instskip(NEXT) | instid1(VALU_DEP_2)
	v_mul_f64_e32 v[0:1], s[0:1], v[0:1]
	v_mul_f64_e32 v[6:7], s[0:1], v[6:7]
	s_delay_alu instid0(VALU_DEP_2) | instskip(NEXT) | instid1(VALU_DEP_2)
	v_cvt_f32_f64_e32 v0, v[0:1]
	v_cvt_f32_f64_e32 v1, v[6:7]
	global_store_b64 v[4:5], v[0:1], off
	global_load_b64 v[0:1], v101, s[8:9] offset:3744
	v_add_co_u32 v4, vcc_lo, v4, s2
	s_wait_alu 0xfffd
	v_add_co_ci_u32_e32 v5, vcc_lo, s3, v5, vcc_lo
	s_wait_loadcnt 0x0
	v_mul_f32_e32 v6, v3, v1
	v_mul_f32_e32 v1, v2, v1
	s_delay_alu instid0(VALU_DEP_2) | instskip(NEXT) | instid1(VALU_DEP_2)
	v_fmac_f32_e32 v6, v2, v0
	v_fma_f32 v2, v0, v3, -v1
	s_delay_alu instid0(VALU_DEP_2) | instskip(NEXT) | instid1(VALU_DEP_2)
	v_cvt_f64_f32_e32 v[0:1], v6
	v_cvt_f64_f32_e32 v[2:3], v2
	s_delay_alu instid0(VALU_DEP_2) | instskip(NEXT) | instid1(VALU_DEP_2)
	v_mul_f64_e32 v[0:1], s[0:1], v[0:1]
	v_mul_f64_e32 v[2:3], s[0:1], v[2:3]
	s_delay_alu instid0(VALU_DEP_2) | instskip(NEXT) | instid1(VALU_DEP_2)
	v_cvt_f32_f64_e32 v0, v[0:1]
	v_cvt_f32_f64_e32 v1, v[2:3]
	global_store_b64 v[4:5], v[0:1], off
	global_load_b64 v[6:7], v101, s[8:9] offset:4680
	v_add_nc_u32_e32 v0, 0x1000, v101
	v_add_co_u32 v4, vcc_lo, v4, s2
	s_wait_alu 0xfffd
	v_add_co_ci_u32_e32 v5, vcc_lo, s3, v5, vcc_lo
	ds_load_2addr_b64 v[0:3], v0 offset0:73 offset1:190
	;; [unrolled: 42-line block ×7, first 2 shown]
	s_wait_loadcnt_dscnt 0x0
	v_mul_f32_e32 v8, v1, v7
	v_mul_f32_e32 v7, v0, v7
	s_delay_alu instid0(VALU_DEP_2) | instskip(NEXT) | instid1(VALU_DEP_2)
	v_fmac_f32_e32 v8, v0, v6
	v_fma_f32 v6, v6, v1, -v7
	s_delay_alu instid0(VALU_DEP_2) | instskip(NEXT) | instid1(VALU_DEP_2)
	v_cvt_f64_f32_e32 v[0:1], v8
	v_cvt_f64_f32_e32 v[6:7], v6
	s_delay_alu instid0(VALU_DEP_2) | instskip(NEXT) | instid1(VALU_DEP_2)
	v_mul_f64_e32 v[0:1], s[0:1], v[0:1]
	v_mul_f64_e32 v[6:7], s[0:1], v[6:7]
	s_delay_alu instid0(VALU_DEP_2) | instskip(NEXT) | instid1(VALU_DEP_2)
	v_cvt_f32_f64_e32 v0, v[0:1]
	v_cvt_f32_f64_e32 v1, v[6:7]
	global_store_b64 v[4:5], v[0:1], off
	global_load_b64 v[0:1], v101, s[8:9] offset:14976
	s_wait_loadcnt 0x0
	v_mul_f32_e32 v6, v3, v1
	v_mul_f32_e32 v1, v2, v1
	s_delay_alu instid0(VALU_DEP_2) | instskip(NEXT) | instid1(VALU_DEP_2)
	v_fmac_f32_e32 v6, v2, v0
	v_fma_f32 v2, v0, v3, -v1
	s_delay_alu instid0(VALU_DEP_2) | instskip(NEXT) | instid1(VALU_DEP_2)
	v_cvt_f64_f32_e32 v[0:1], v6
	v_cvt_f64_f32_e32 v[2:3], v2
	s_delay_alu instid0(VALU_DEP_2) | instskip(NEXT) | instid1(VALU_DEP_2)
	v_mul_f64_e32 v[0:1], s[0:1], v[0:1]
	v_mul_f64_e32 v[2:3], s[0:1], v[2:3]
	s_delay_alu instid0(VALU_DEP_2) | instskip(NEXT) | instid1(VALU_DEP_2)
	v_cvt_f32_f64_e32 v0, v[0:1]
	v_cvt_f32_f64_e32 v1, v[2:3]
	v_add_co_u32 v2, vcc_lo, v4, s2
	s_wait_alu 0xfffd
	v_add_co_ci_u32_e32 v3, vcc_lo, s3, v5, vcc_lo
	global_store_b64 v[2:3], v[0:1], off
.LBB0_23:
	s_nop 0
	s_sendmsg sendmsg(MSG_DEALLOC_VGPRS)
	s_endpgm
	.section	.rodata,"a",@progbits
	.p2align	6, 0x0
	.amdhsa_kernel bluestein_single_back_len1989_dim1_sp_op_CI_CI
		.amdhsa_group_segment_fixed_size 15912
		.amdhsa_private_segment_fixed_size 0
		.amdhsa_kernarg_size 104
		.amdhsa_user_sgpr_count 2
		.amdhsa_user_sgpr_dispatch_ptr 0
		.amdhsa_user_sgpr_queue_ptr 0
		.amdhsa_user_sgpr_kernarg_segment_ptr 1
		.amdhsa_user_sgpr_dispatch_id 0
		.amdhsa_user_sgpr_private_segment_size 0
		.amdhsa_wavefront_size32 1
		.amdhsa_uses_dynamic_stack 0
		.amdhsa_enable_private_segment 0
		.amdhsa_system_sgpr_workgroup_id_x 1
		.amdhsa_system_sgpr_workgroup_id_y 0
		.amdhsa_system_sgpr_workgroup_id_z 0
		.amdhsa_system_sgpr_workgroup_info 0
		.amdhsa_system_vgpr_workitem_id 0
		.amdhsa_next_free_vgpr 208
		.amdhsa_next_free_sgpr 14
		.amdhsa_reserve_vcc 1
		.amdhsa_float_round_mode_32 0
		.amdhsa_float_round_mode_16_64 0
		.amdhsa_float_denorm_mode_32 3
		.amdhsa_float_denorm_mode_16_64 3
		.amdhsa_fp16_overflow 0
		.amdhsa_workgroup_processor_mode 1
		.amdhsa_memory_ordered 1
		.amdhsa_forward_progress 0
		.amdhsa_round_robin_scheduling 0
		.amdhsa_exception_fp_ieee_invalid_op 0
		.amdhsa_exception_fp_denorm_src 0
		.amdhsa_exception_fp_ieee_div_zero 0
		.amdhsa_exception_fp_ieee_overflow 0
		.amdhsa_exception_fp_ieee_underflow 0
		.amdhsa_exception_fp_ieee_inexact 0
		.amdhsa_exception_int_div_zero 0
	.end_amdhsa_kernel
	.text
.Lfunc_end0:
	.size	bluestein_single_back_len1989_dim1_sp_op_CI_CI, .Lfunc_end0-bluestein_single_back_len1989_dim1_sp_op_CI_CI
                                        ; -- End function
	.section	.AMDGPU.csdata,"",@progbits
; Kernel info:
; codeLenInByte = 27304
; NumSgprs: 16
; NumVgprs: 208
; ScratchSize: 0
; MemoryBound: 0
; FloatMode: 240
; IeeeMode: 1
; LDSByteSize: 15912 bytes/workgroup (compile time only)
; SGPRBlocks: 1
; VGPRBlocks: 25
; NumSGPRsForWavesPerEU: 16
; NumVGPRsForWavesPerEU: 208
; Occupancy: 7
; WaveLimiterHint : 1
; COMPUTE_PGM_RSRC2:SCRATCH_EN: 0
; COMPUTE_PGM_RSRC2:USER_SGPR: 2
; COMPUTE_PGM_RSRC2:TRAP_HANDLER: 0
; COMPUTE_PGM_RSRC2:TGID_X_EN: 1
; COMPUTE_PGM_RSRC2:TGID_Y_EN: 0
; COMPUTE_PGM_RSRC2:TGID_Z_EN: 0
; COMPUTE_PGM_RSRC2:TIDIG_COMP_CNT: 0
	.text
	.p2alignl 7, 3214868480
	.fill 96, 4, 3214868480
	.type	__hip_cuid_bf24965c58df085b,@object ; @__hip_cuid_bf24965c58df085b
	.section	.bss,"aw",@nobits
	.globl	__hip_cuid_bf24965c58df085b
__hip_cuid_bf24965c58df085b:
	.byte	0                               ; 0x0
	.size	__hip_cuid_bf24965c58df085b, 1

	.ident	"AMD clang version 19.0.0git (https://github.com/RadeonOpenCompute/llvm-project roc-6.4.0 25133 c7fe45cf4b819c5991fe208aaa96edf142730f1d)"
	.section	".note.GNU-stack","",@progbits
	.addrsig
	.addrsig_sym __hip_cuid_bf24965c58df085b
	.amdgpu_metadata
---
amdhsa.kernels:
  - .args:
      - .actual_access:  read_only
        .address_space:  global
        .offset:         0
        .size:           8
        .value_kind:     global_buffer
      - .actual_access:  read_only
        .address_space:  global
        .offset:         8
        .size:           8
        .value_kind:     global_buffer
      - .actual_access:  read_only
        .address_space:  global
        .offset:         16
        .size:           8
        .value_kind:     global_buffer
      - .actual_access:  read_only
        .address_space:  global
        .offset:         24
        .size:           8
        .value_kind:     global_buffer
      - .actual_access:  read_only
        .address_space:  global
        .offset:         32
        .size:           8
        .value_kind:     global_buffer
      - .offset:         40
        .size:           8
        .value_kind:     by_value
      - .address_space:  global
        .offset:         48
        .size:           8
        .value_kind:     global_buffer
      - .address_space:  global
        .offset:         56
        .size:           8
        .value_kind:     global_buffer
      - .address_space:  global
        .offset:         64
        .size:           8
        .value_kind:     global_buffer
      - .address_space:  global
        .offset:         72
        .size:           8
        .value_kind:     global_buffer
      - .offset:         80
        .size:           4
        .value_kind:     by_value
      - .address_space:  global
        .offset:         88
        .size:           8
        .value_kind:     global_buffer
      - .address_space:  global
        .offset:         96
        .size:           8
        .value_kind:     global_buffer
    .group_segment_fixed_size: 15912
    .kernarg_segment_align: 8
    .kernarg_segment_size: 104
    .language:       OpenCL C
    .language_version:
      - 2
      - 0
    .max_flat_workgroup_size: 153
    .name:           bluestein_single_back_len1989_dim1_sp_op_CI_CI
    .private_segment_fixed_size: 0
    .sgpr_count:     16
    .sgpr_spill_count: 0
    .symbol:         bluestein_single_back_len1989_dim1_sp_op_CI_CI.kd
    .uniform_work_group_size: 1
    .uses_dynamic_stack: false
    .vgpr_count:     208
    .vgpr_spill_count: 0
    .wavefront_size: 32
    .workgroup_processor_mode: 1
amdhsa.target:   amdgcn-amd-amdhsa--gfx1201
amdhsa.version:
  - 1
  - 2
...

	.end_amdgpu_metadata
